;; amdgpu-corpus repo=ROCm/rocFFT kind=compiled arch=gfx1030 opt=O3
	.text
	.amdgcn_target "amdgcn-amd-amdhsa--gfx1030"
	.amdhsa_code_object_version 6
	.protected	fft_rtc_fwd_len150_factors_10_5_3_wgs_60_tpt_5_halfLds_half_ip_CI_unitstride_sbrr_dirReg ; -- Begin function fft_rtc_fwd_len150_factors_10_5_3_wgs_60_tpt_5_halfLds_half_ip_CI_unitstride_sbrr_dirReg
	.globl	fft_rtc_fwd_len150_factors_10_5_3_wgs_60_tpt_5_halfLds_half_ip_CI_unitstride_sbrr_dirReg
	.p2align	8
	.type	fft_rtc_fwd_len150_factors_10_5_3_wgs_60_tpt_5_halfLds_half_ip_CI_unitstride_sbrr_dirReg,@function
fft_rtc_fwd_len150_factors_10_5_3_wgs_60_tpt_5_halfLds_half_ip_CI_unitstride_sbrr_dirReg: ; @fft_rtc_fwd_len150_factors_10_5_3_wgs_60_tpt_5_halfLds_half_ip_CI_unitstride_sbrr_dirReg
; %bb.0:
	s_load_dwordx4 s[8:11], s[4:5], 0x0
	v_mul_u32_u24_e32 v1, 0x3334, v0
	s_clause 0x1
	s_load_dwordx2 s[2:3], s[4:5], 0x50
	s_load_dwordx2 s[12:13], s[4:5], 0x18
	v_mov_b32_e32 v5, 0
	v_mov_b32_e32 v3, 0
	;; [unrolled: 1-line block ×3, first 2 shown]
	v_lshrrev_b32_e32 v1, 16, v1
	v_mad_u64_u32 v[1:2], null, s6, 12, v[1:2]
	v_mov_b32_e32 v2, v5
	v_mov_b32_e32 v10, v2
	;; [unrolled: 1-line block ×3, first 2 shown]
	s_waitcnt lgkmcnt(0)
	v_cmp_lt_u64_e64 s0, s[10:11], 2
	s_and_b32 vcc_lo, exec_lo, s0
	s_cbranch_vccnz .LBB0_8
; %bb.1:
	s_load_dwordx2 s[0:1], s[4:5], 0x10
	v_mov_b32_e32 v3, 0
	v_mov_b32_e32 v8, v2
	s_add_u32 s6, s12, 8
	v_mov_b32_e32 v4, 0
	v_mov_b32_e32 v7, v1
	s_addc_u32 s7, s13, 0
	s_mov_b64 s[16:17], 1
	s_waitcnt lgkmcnt(0)
	s_add_u32 s14, s0, 8
	s_addc_u32 s15, s1, 0
.LBB0_2:                                ; =>This Inner Loop Header: Depth=1
	s_load_dwordx2 s[18:19], s[14:15], 0x0
                                        ; implicit-def: $vgpr9_vgpr10
	s_mov_b32 s0, exec_lo
	s_waitcnt lgkmcnt(0)
	v_or_b32_e32 v6, s19, v8
	v_cmpx_ne_u64_e32 0, v[5:6]
	s_xor_b32 s1, exec_lo, s0
	s_cbranch_execz .LBB0_4
; %bb.3:                                ;   in Loop: Header=BB0_2 Depth=1
	v_cvt_f32_u32_e32 v2, s18
	v_cvt_f32_u32_e32 v6, s19
	s_sub_u32 s0, 0, s18
	s_subb_u32 s20, 0, s19
	v_fmac_f32_e32 v2, 0x4f800000, v6
	v_rcp_f32_e32 v2, v2
	v_mul_f32_e32 v2, 0x5f7ffffc, v2
	v_mul_f32_e32 v6, 0x2f800000, v2
	v_trunc_f32_e32 v6, v6
	v_fmac_f32_e32 v2, 0xcf800000, v6
	v_cvt_u32_f32_e32 v6, v6
	v_cvt_u32_f32_e32 v2, v2
	v_mul_lo_u32 v9, s0, v6
	v_mul_hi_u32 v10, s0, v2
	v_mul_lo_u32 v11, s20, v2
	v_add_nc_u32_e32 v9, v10, v9
	v_mul_lo_u32 v10, s0, v2
	v_add_nc_u32_e32 v9, v9, v11
	v_mul_hi_u32 v11, v2, v10
	v_mul_lo_u32 v12, v2, v9
	v_mul_hi_u32 v13, v2, v9
	v_mul_hi_u32 v14, v6, v10
	v_mul_lo_u32 v10, v6, v10
	v_mul_hi_u32 v15, v6, v9
	v_mul_lo_u32 v9, v6, v9
	v_add_co_u32 v11, vcc_lo, v11, v12
	v_add_co_ci_u32_e32 v12, vcc_lo, 0, v13, vcc_lo
	v_add_co_u32 v10, vcc_lo, v11, v10
	v_add_co_ci_u32_e32 v10, vcc_lo, v12, v14, vcc_lo
	v_add_co_ci_u32_e32 v11, vcc_lo, 0, v15, vcc_lo
	v_add_co_u32 v9, vcc_lo, v10, v9
	v_add_co_ci_u32_e32 v10, vcc_lo, 0, v11, vcc_lo
	v_add_co_u32 v2, vcc_lo, v2, v9
	v_add_co_ci_u32_e32 v6, vcc_lo, v6, v10, vcc_lo
	v_mul_hi_u32 v9, s0, v2
	v_mul_lo_u32 v11, s20, v2
	v_mul_lo_u32 v10, s0, v6
	v_add_nc_u32_e32 v9, v9, v10
	v_mul_lo_u32 v10, s0, v2
	v_add_nc_u32_e32 v9, v9, v11
	v_mul_hi_u32 v11, v2, v10
	v_mul_lo_u32 v12, v2, v9
	v_mul_hi_u32 v13, v2, v9
	v_mul_hi_u32 v14, v6, v10
	v_mul_lo_u32 v10, v6, v10
	v_mul_hi_u32 v15, v6, v9
	v_mul_lo_u32 v9, v6, v9
	v_add_co_u32 v11, vcc_lo, v11, v12
	v_add_co_ci_u32_e32 v12, vcc_lo, 0, v13, vcc_lo
	v_add_co_u32 v10, vcc_lo, v11, v10
	v_add_co_ci_u32_e32 v10, vcc_lo, v12, v14, vcc_lo
	v_add_co_ci_u32_e32 v11, vcc_lo, 0, v15, vcc_lo
	v_add_co_u32 v9, vcc_lo, v10, v9
	v_add_co_ci_u32_e32 v10, vcc_lo, 0, v11, vcc_lo
	v_add_co_u32 v2, vcc_lo, v2, v9
	v_add_co_ci_u32_e32 v6, vcc_lo, v6, v10, vcc_lo
	v_mul_hi_u32 v15, v7, v2
	v_mad_u64_u32 v[11:12], null, v8, v2, 0
	v_mad_u64_u32 v[9:10], null, v7, v6, 0
	v_mad_u64_u32 v[13:14], null, v8, v6, 0
	v_add_co_u32 v2, vcc_lo, v15, v9
	v_add_co_ci_u32_e32 v6, vcc_lo, 0, v10, vcc_lo
	v_add_co_u32 v2, vcc_lo, v2, v11
	v_add_co_ci_u32_e32 v2, vcc_lo, v6, v12, vcc_lo
	v_add_co_ci_u32_e32 v6, vcc_lo, 0, v14, vcc_lo
	v_add_co_u32 v2, vcc_lo, v2, v13
	v_add_co_ci_u32_e32 v6, vcc_lo, 0, v6, vcc_lo
	v_mul_lo_u32 v11, s19, v2
	v_mad_u64_u32 v[9:10], null, s18, v2, 0
	v_mul_lo_u32 v12, s18, v6
	v_sub_co_u32 v9, vcc_lo, v7, v9
	v_add3_u32 v10, v10, v12, v11
	v_sub_nc_u32_e32 v11, v8, v10
	v_subrev_co_ci_u32_e64 v11, s0, s19, v11, vcc_lo
	v_add_co_u32 v12, s0, v2, 2
	v_add_co_ci_u32_e64 v13, s0, 0, v6, s0
	v_sub_co_u32 v14, s0, v9, s18
	v_sub_co_ci_u32_e32 v10, vcc_lo, v8, v10, vcc_lo
	v_subrev_co_ci_u32_e64 v11, s0, 0, v11, s0
	v_cmp_le_u32_e32 vcc_lo, s18, v14
	v_cmp_eq_u32_e64 s0, s19, v10
	v_cndmask_b32_e64 v14, 0, -1, vcc_lo
	v_cmp_le_u32_e32 vcc_lo, s19, v11
	v_cndmask_b32_e64 v15, 0, -1, vcc_lo
	v_cmp_le_u32_e32 vcc_lo, s18, v9
	;; [unrolled: 2-line block ×3, first 2 shown]
	v_cndmask_b32_e64 v16, 0, -1, vcc_lo
	v_cmp_eq_u32_e32 vcc_lo, s19, v11
	v_cndmask_b32_e64 v9, v16, v9, s0
	v_cndmask_b32_e32 v11, v15, v14, vcc_lo
	v_add_co_u32 v14, vcc_lo, v2, 1
	v_add_co_ci_u32_e32 v15, vcc_lo, 0, v6, vcc_lo
	v_cmp_ne_u32_e32 vcc_lo, 0, v11
	v_cndmask_b32_e32 v10, v15, v13, vcc_lo
	v_cndmask_b32_e32 v11, v14, v12, vcc_lo
	v_cmp_ne_u32_e32 vcc_lo, 0, v9
	v_cndmask_b32_e32 v10, v6, v10, vcc_lo
	v_cndmask_b32_e32 v9, v2, v11, vcc_lo
.LBB0_4:                                ;   in Loop: Header=BB0_2 Depth=1
	s_andn2_saveexec_b32 s0, s1
	s_cbranch_execz .LBB0_6
; %bb.5:                                ;   in Loop: Header=BB0_2 Depth=1
	v_cvt_f32_u32_e32 v2, s18
	s_sub_i32 s1, 0, s18
	v_rcp_iflag_f32_e32 v2, v2
	v_mul_f32_e32 v2, 0x4f7ffffe, v2
	v_cvt_u32_f32_e32 v2, v2
	v_mul_lo_u32 v6, s1, v2
	v_mul_hi_u32 v6, v2, v6
	v_add_nc_u32_e32 v2, v2, v6
	v_mul_hi_u32 v2, v7, v2
	v_mul_lo_u32 v6, v2, s18
	v_add_nc_u32_e32 v9, 1, v2
	v_sub_nc_u32_e32 v6, v7, v6
	v_subrev_nc_u32_e32 v10, s18, v6
	v_cmp_le_u32_e32 vcc_lo, s18, v6
	v_cndmask_b32_e32 v6, v6, v10, vcc_lo
	v_cndmask_b32_e32 v2, v2, v9, vcc_lo
	v_mov_b32_e32 v10, v5
	v_cmp_le_u32_e32 vcc_lo, s18, v6
	v_add_nc_u32_e32 v9, 1, v2
	v_cndmask_b32_e32 v9, v2, v9, vcc_lo
.LBB0_6:                                ;   in Loop: Header=BB0_2 Depth=1
	s_or_b32 exec_lo, exec_lo, s0
	s_load_dwordx2 s[0:1], s[6:7], 0x0
	v_mul_lo_u32 v2, v10, s18
	v_mul_lo_u32 v6, v9, s19
	v_mad_u64_u32 v[11:12], null, v9, s18, 0
	s_add_u32 s16, s16, 1
	s_addc_u32 s17, s17, 0
	s_add_u32 s6, s6, 8
	s_addc_u32 s7, s7, 0
	;; [unrolled: 2-line block ×3, first 2 shown]
	v_add3_u32 v2, v12, v6, v2
	v_sub_co_u32 v6, vcc_lo, v7, v11
	v_sub_co_ci_u32_e32 v2, vcc_lo, v8, v2, vcc_lo
	s_waitcnt lgkmcnt(0)
	v_mul_lo_u32 v7, s1, v6
	v_mul_lo_u32 v2, s0, v2
	v_mad_u64_u32 v[3:4], null, s0, v6, v[3:4]
	v_cmp_ge_u64_e64 s0, s[16:17], s[10:11]
	s_and_b32 vcc_lo, exec_lo, s0
	v_add3_u32 v4, v7, v4, v2
	s_cbranch_vccnz .LBB0_8
; %bb.7:                                ;   in Loop: Header=BB0_2 Depth=1
	v_mov_b32_e32 v7, v9
	v_mov_b32_e32 v8, v10
	s_branch .LBB0_2
.LBB0_8:
	s_lshl_b64 s[0:1], s[10:11], 3
	v_mul_hi_u32 v2, 0x33333334, v0
	s_add_u32 s0, s12, s0
	s_addc_u32 s1, s13, s1
	s_load_dwordx2 s[0:1], s[0:1], 0x0
	s_load_dwordx2 s[4:5], s[4:5], 0x20
	v_mul_u32_u24_e32 v5, 5, v2
	v_sub_nc_u32_e32 v16, v0, v5
	v_or_b32_e32 v21, 40, v16
	v_or_b32_e32 v24, 0x50, v16
	s_waitcnt lgkmcnt(0)
	v_mul_lo_u32 v6, s0, v10
	v_mul_lo_u32 v7, s1, v9
	v_mad_u64_u32 v[2:3], null, s0, v9, v[3:4]
	v_cmp_gt_u64_e32 vcc_lo, s[4:5], v[9:10]
	v_cmp_le_u64_e64 s0, s[4:5], v[9:10]
	v_add3_u32 v3, v7, v3, v6
	s_and_saveexec_b32 s1, s0
	s_xor_b32 s0, exec_lo, s1
; %bb.9:
	v_or_b32_e32 v21, 40, v16
	v_or_b32_e32 v24, 0x50, v16
; %bb.10:
	s_or_saveexec_b32 s1, s0
	v_lshlrev_b64 v[18:19], 2, v[2:3]
                                        ; implicit-def: $vgpr5
                                        ; implicit-def: $vgpr7
                                        ; implicit-def: $vgpr8
                                        ; implicit-def: $vgpr4
                                        ; implicit-def: $vgpr10
                                        ; implicit-def: $vgpr3
                                        ; implicit-def: $vgpr11
                                        ; implicit-def: $vgpr6
                                        ; implicit-def: $vgpr0
                                        ; implicit-def: $vgpr17
                                        ; implicit-def: $vgpr33
                                        ; implicit-def: $vgpr22
                                        ; implicit-def: $vgpr37
                                        ; implicit-def: $vgpr14
                                        ; implicit-def: $vgpr38
                                        ; implicit-def: $vgpr12
                                        ; implicit-def: $vgpr39
                                        ; implicit-def: $vgpr15
                                        ; implicit-def: $vgpr2
                                        ; implicit-def: $vgpr47
                                        ; implicit-def: $vgpr34
                                        ; implicit-def: $vgpr26
                                        ; implicit-def: $vgpr36
                                        ; implicit-def: $vgpr25
                                        ; implicit-def: $vgpr41
                                        ; implicit-def: $vgpr20
                                        ; implicit-def: $vgpr42
                                        ; implicit-def: $vgpr32
                                        ; implicit-def: $vgpr30
                                        ; implicit-def: $vgpr46
                                        ; implicit-def: $vgpr35
                                        ; implicit-def: $vgpr31
                                        ; implicit-def: $vgpr43
                                        ; implicit-def: $vgpr52
                                        ; implicit-def: $vgpr27
                                        ; implicit-def: $vgpr29
                                        ; implicit-def: $vgpr28
                                        ; implicit-def: $vgpr40
                                        ; implicit-def: $vgpr48
                                        ; implicit-def: $vgpr49
                                        ; implicit-def: $vgpr13
                                        ; implicit-def: $vgpr9
                                        ; implicit-def: $vgpr23
                                        ; implicit-def: $vgpr45
                                        ; implicit-def: $vgpr44
	s_xor_b32 exec_lo, exec_lo, s1
	s_cbranch_execz .LBB0_12
; %bb.11:
	v_mov_b32_e32 v17, 0
	v_add_co_u32 v0, s0, s2, v18
	v_add_co_ci_u32_e64 v4, s0, s3, v19, s0
	v_lshlrev_b64 v[2:3], 2, v[16:17]
	v_add_co_u32 v10, s0, v0, v2
	v_add_co_ci_u32_e64 v11, s0, v4, v3, s0
	s_clause 0x1d
	global_load_dword v46, v[10:11], off
	global_load_dword v47, v[10:11], off offset:20
	global_load_dword v15, v[10:11], off offset:140
	;; [unrolled: 1-line block ×29, first 2 shown]
	s_waitcnt vmcnt(29)
	v_lshrrev_b32_e32 v30, 16, v46
	s_waitcnt vmcnt(28)
	v_lshrrev_b32_e32 v2, 16, v47
	;; [unrolled: 2-line block ×15, first 2 shown]
.LBB0_12:
	s_or_b32 exec_lo, exec_lo, s1
	v_add_f16_e32 v50, v25, v20
	v_add_f16_e32 v53, v26, v32
	;; [unrolled: 1-line block ×3, first 2 shown]
	v_sub_f16_e32 v54, v25, v26
	v_mul_hi_u32 v51, 0xaaaaaaab, v1
	v_fma_f16 v50, -0.5, v50, v46
	v_fmac_f16_e32 v46, -0.5, v53
	v_sub_f16_e32 v53, v20, v32
	v_sub_f16_e32 v56, v41, v36
	;; [unrolled: 1-line block ×3, first 2 shown]
	s_waitcnt vmcnt(3)
	v_pk_add_f16 v60, v31, v52
	s_waitcnt vmcnt(2)
	v_pk_add_f16 v61, v43, v35 neg_lo:[0,1] neg_hi:[0,1]
	v_add_f16_e32 v53, v54, v53
	v_sub_f16_e32 v54, v26, v25
	v_sub_f16_e32 v57, v42, v34
	v_fmamk_f16 v55, v56, 0xbb9c, v46
	v_fmac_f16_e32 v46, 0x3b9c, v56
	v_pk_add_f16 v63, v52, v31 neg_lo:[0,1] neg_hi:[0,1]
	v_add_f16_e32 v62, v54, v59
	v_pk_fma_f16 v54, v60, 0.5, v27 op_sel_hi:[1,0,1] neg_lo:[1,0,0] neg_hi:[1,0,0]
	v_pk_mul_f16 v59, 0x3b9c, v61 op_sel_hi:[0,1]
	v_lshrrev_b32_e32 v51, 3, v51
	v_fmac_f16_e32 v55, 0x38b4, v57
	v_fmac_f16_e32 v46, 0xb8b4, v57
	v_pk_add_f16 v60, v43, v52 neg_lo:[0,1] neg_hi:[0,1]
	v_pk_add_f16 v64, v35, v31 neg_lo:[0,1] neg_hi:[0,1]
	v_pk_add_f16 v65, v54, v59 op_sel:[0,1] op_sel_hi:[1,0] neg_lo:[0,1] neg_hi:[0,1]
	v_pk_mul_f16 v66, 0x38b4, v63 op_sel_hi:[0,1]
	v_pk_add_f16 v54, v59, v54 op_sel:[1,0] op_sel_hi:[0,1]
	v_mul_lo_u32 v51, v51, 12
	v_fmac_f16_e32 v55, 0x34f2, v53
	v_fmac_f16_e32 v46, 0x34f2, v53
	v_pk_add_f16 v53, v64, v60
	v_pk_add_f16 v59, v66, v65 op_sel:[1,0] op_sel_hi:[0,1]
	v_pk_add_f16 v60, v54, v66 op_sel:[0,1] op_sel_hi:[1,0] neg_lo:[0,1] neg_hi:[0,1]
	v_pk_add_f16 v64, v52, v43 neg_lo:[0,1] neg_hi:[0,1]
	v_pk_add_f16 v65, v31, v35 neg_lo:[0,1] neg_hi:[0,1]
	v_sub_nc_u32_e32 v1, v1, v51
	v_lshrrev_b32_e32 v51, 16, v27
	v_pk_fma_f16 v54, 0x34f2, v53, v59 op_sel_hi:[0,1,1]
	v_pk_fma_f16 v53, 0x34f2, v53, v60 op_sel_hi:[0,1,1]
	v_add_f16_sdwa v59, v35, v43 dst_sel:DWORD dst_unused:UNUSED_PAD src0_sel:WORD_1 src1_sel:WORD_1
	v_pk_add_f16 v64, v65, v64
	v_add_f16_sdwa v60, v52, v51 dst_sel:DWORD dst_unused:UNUSED_PAD src0_sel:WORD_1 src1_sel:DWORD
	v_lshrrev_b32_e32 v67, 16, v54
	v_add_f16_e32 v68, v35, v43
	v_fmac_f16_e32 v51, -0.5, v59
	v_mul_f16_e32 v59, 0x34f2, v53
	v_mul_f16_e32 v65, 0x34f2, v54
	v_lshrrev_b32_e32 v66, 16, v53
	v_bfi_b32 v64, 0xffff, v64, v61
	v_sub_f16_sdwa v69, v31, v35 dst_sel:DWORD dst_unused:UNUSED_PAD src0_sel:WORD_1 src1_sel:WORD_1
	v_fma_f16 v70, v67, 0x3b9c, -v59
	v_fma_f16 v59, -0.5, v68, v27
	v_lshrrev_b32_e32 v67, 16, v63
	v_fmac_f16_e32 v65, 0x3b9c, v66
	v_sub_f16_sdwa v66, v52, v43 dst_sel:DWORD dst_unused:UNUSED_PAD src0_sel:WORD_1 src1_sel:WORD_1
	v_add_f16_e32 v27, v52, v27
	v_pk_mul_f16 v64, 0x38b434f2, v64
	v_fmamk_f16 v52, v63, 0xbb9c, v51
	v_fmac_f16_e32 v51, 0x3b9c, v63
	v_fmamk_f16 v63, v67, 0x3b9c, v59
	v_fmac_f16_e32 v59, 0xbb9c, v67
	v_add_f16_e32 v27, v43, v27
	v_fmamk_f16 v67, v57, 0x3b9c, v50
	v_fmac_f16_e32 v50, 0xbb9c, v57
	v_add_f16_sdwa v63, v64, v63 dst_sel:DWORD dst_unused:UNUSED_PAD src0_sel:WORD_1 src1_sel:DWORD
	v_sub_f16_sdwa v57, v59, v64 dst_sel:DWORD dst_unused:UNUSED_PAD src0_sel:DWORD src1_sel:WORD_1
	v_add_f16_e32 v66, v69, v66
	v_add_f16_e32 v58, v20, v58
	;; [unrolled: 1-line block ×3, first 2 shown]
	v_fmac_f16_e32 v52, 0xb8b4, v61
	v_add_f16_e32 v63, v64, v63
	v_fmac_f16_e32 v51, 0x38b4, v61
	v_add_f16_e32 v59, v64, v57
	v_add_f16_e32 v58, v25, v58
	v_fmac_f16_e32 v67, 0x38b4, v56
	v_add_f16_e32 v69, v31, v27
	v_fmac_f16_e32 v52, 0x34f2, v66
	v_mul_f16_e32 v27, 0x3a79, v63
	v_mul_u32_u24_e32 v1, 0x96, v1
	v_fmac_f16_e32 v50, 0xb8b4, v56
	v_fmac_f16_e32 v51, 0x34f2, v66
	v_mul_f16_e32 v64, 0x3a79, v59
	v_add_f16_e32 v58, v26, v58
	v_fmac_f16_e32 v67, 0x34f2, v62
	v_fmac_f16_e32 v27, 0x38b4, v52
	v_lshlrev_b32_e32 v56, 1, v1
	v_fmac_f16_e32 v50, 0x34f2, v62
	v_fma_f16 v62, v51, 0x38b4, -v64
	v_add_f16_e32 v68, v55, v65
	v_add_f16_e32 v61, v46, v70
	;; [unrolled: 1-line block ×4, first 2 shown]
	v_mul_u32_u24_e32 v1, 10, v16
	v_sub_f16_e32 v64, v67, v27
	v_add_nc_u32_e32 v27, 0, v56
	v_sub_f16_e32 v55, v55, v65
	v_sub_f16_e32 v58, v58, v69
	v_add_f16_e32 v65, v50, v62
	v_pack_b32_f16 v61, v68, v61
	v_pack_b32_f16 v57, v57, v66
	v_lshl_add_u32 v1, v1, 1, v27
	v_pack_b32_f16 v55, v64, v55
	v_add_f16_e32 v64, v14, v12
	v_pack_b32_f16 v58, v65, v58
	v_add_f16_e32 v65, v22, v15
	ds_write2_b32 v1, v57, v61 offset1:1
	ds_write2_b32 v1, v58, v55 offset0:2 offset1:3
	v_fma_f16 v55, -0.5, v64, v47
	v_sub_f16_e32 v61, v15, v12
	v_sub_f16_e32 v64, v22, v14
	v_pk_add_f16 v67, v28, v48
	s_waitcnt vmcnt(1)
	v_pk_add_f16 v71, v40, v29 neg_lo:[0,1] neg_hi:[0,1]
	v_add_f16_e32 v57, v15, v47
	v_fmac_f16_e32 v47, -0.5, v65
	v_sub_f16_e32 v58, v38, v37
	v_sub_f16_e32 v65, v12, v15
	;; [unrolled: 1-line block ×3, first 2 shown]
	v_add_f16_e32 v61, v64, v61
	v_pk_fma_f16 v64, v67, 0.5, v49 op_sel_hi:[1,0,1] neg_lo:[1,0,0] neg_hi:[1,0,0]
	v_pk_mul_f16 v67, 0x3b9c, v71 op_sel_hi:[0,1]
	v_pk_add_f16 v73, v48, v28 neg_lo:[0,1] neg_hi:[0,1]
	v_fmamk_f16 v69, v58, 0xbb9c, v47
	v_sub_f16_e32 v72, v39, v33
	v_fmac_f16_e32 v47, 0x3b9c, v58
	v_add_f16_e32 v65, v66, v65
	v_pk_add_f16 v66, v40, v48 neg_lo:[0,1] neg_hi:[0,1]
	v_pk_add_f16 v68, v29, v28 neg_lo:[0,1] neg_hi:[0,1]
	v_pk_add_f16 v74, v67, v64 op_sel:[1,0] op_sel_hi:[0,1]
	v_pk_mul_f16 v75, 0x38b4, v73 op_sel_hi:[0,1]
	v_pk_add_f16 v64, v64, v67 op_sel:[0,1] op_sel_hi:[1,0] neg_lo:[0,1] neg_hi:[0,1]
	v_fmac_f16_e32 v69, 0x38b4, v72
	v_fmac_f16_e32 v47, 0xb8b4, v72
	v_pk_add_f16 v67, v68, v66
	v_pk_add_f16 v68, v74, v75 op_sel:[0,1] op_sel_hi:[1,0] neg_lo:[0,1] neg_hi:[0,1]
	v_pk_add_f16 v64, v75, v64 op_sel:[1,0] op_sel_hi:[0,1]
	v_pk_add_f16 v74, v48, v40 neg_lo:[0,1] neg_hi:[0,1]
	v_pk_add_f16 v75, v28, v29 neg_lo:[0,1] neg_hi:[0,1]
	v_fmac_f16_e32 v69, 0x34f2, v65
	v_fmac_f16_e32 v47, 0x34f2, v65
	v_pk_fma_f16 v66, 0x34f2, v67, v64 op_sel_hi:[0,1,1]
	v_pk_fma_f16 v65, 0x34f2, v67, v68 op_sel_hi:[0,1,1]
	v_pk_add_f16 v64, v75, v74
	v_lshrrev_b32_e32 v67, 16, v49
	v_add_f16_sdwa v74, v29, v40 dst_sel:DWORD dst_unused:UNUSED_PAD src0_sel:WORD_1 src1_sel:WORD_1
	v_mul_f16_e32 v75, 0x34f2, v66
	v_lshrrev_b32_e32 v76, 16, v65
	v_mul_f16_e32 v77, 0x34f2, v65
	v_lshrrev_b32_e32 v78, 16, v66
	v_add_f16_e32 v79, v29, v40
	v_add_f16_sdwa v68, v48, v67 dst_sel:DWORD dst_unused:UNUSED_PAD src0_sel:WORD_1 src1_sel:DWORD
	v_fmac_f16_e32 v67, -0.5, v74
	v_fmac_f16_e32 v75, 0x3b9c, v76
	v_fma_f16 v74, v78, 0x3b9c, -v77
	v_fma_f16 v76, -0.5, v79, v49
	v_lshrrev_b32_e32 v78, 16, v73
	v_bfi_b32 v64, 0xffff, v64, v71
	v_sub_f16_sdwa v77, v48, v40 dst_sel:DWORD dst_unused:UNUSED_PAD src0_sel:WORD_1 src1_sel:WORD_1
	v_sub_f16_sdwa v79, v28, v29 dst_sel:DWORD dst_unused:UNUSED_PAD src0_sel:WORD_1 src1_sel:WORD_1
	v_add_f16_e32 v80, v69, v75
	v_fmamk_f16 v82, v78, 0x3b9c, v76
	v_pk_mul_f16 v64, 0x38b434f2, v64
	v_fmac_f16_e32 v76, 0xbb9c, v78
	v_add_f16_e32 v81, v47, v74
	v_add_f16_e32 v48, v48, v49
	;; [unrolled: 1-line block ×3, first 2 shown]
	v_fmamk_f16 v79, v73, 0xbb9c, v67
	v_fmac_f16_e32 v67, 0x3b9c, v73
	v_sub_f16_sdwa v73, v76, v64 dst_sel:DWORD dst_unused:UNUSED_PAD src0_sel:DWORD src1_sel:WORD_1
	v_pack_b32_f16 v77, v80, v81
	v_add_f16_sdwa v80, v64, v82 dst_sel:DWORD dst_unused:UNUSED_PAD src0_sel:WORD_1 src1_sel:DWORD
	v_fmamk_f16 v81, v72, 0x3b9c, v55
	v_fmac_f16_e32 v55, 0xbb9c, v72
	v_fmac_f16_e32 v79, 0xb8b4, v71
	v_add_f16_e32 v57, v12, v57
	v_add_f16_e32 v48, v40, v48
	v_fmac_f16_e32 v67, 0x38b4, v71
	v_add_f16_e32 v71, v64, v73
	v_add_f16_e32 v72, v64, v80
	v_fmac_f16_e32 v55, 0xb8b4, v58
	v_fmac_f16_e32 v79, 0x34f2, v49
	v_add_f16_e32 v57, v14, v57
	v_add_f16_e32 v48, v29, v48
	v_fmac_f16_e32 v67, 0x34f2, v49
	v_mul_f16_e32 v49, 0x3a79, v71
	v_fmac_f16_e32 v81, 0x38b4, v58
	v_mul_f16_e32 v58, 0x3a79, v72
	v_add_f16_e32 v57, v22, v57
	v_add_f16_e32 v48, v28, v48
	v_fmac_f16_e32 v55, 0x34f2, v61
	v_fma_f16 v49, v67, 0x38b4, -v49
	v_fmac_f16_e32 v81, 0x34f2, v61
	v_fmac_f16_e32 v58, 0x38b4, v79
	v_sub_f16_e32 v61, v69, v75
	v_add_f16_e32 v69, v48, v57
	v_sub_f16_e32 v48, v57, v48
	v_add_f16_e32 v57, v55, v49
	v_add_f16_e32 v64, v81, v58
	v_sub_f16_e32 v58, v81, v58
	v_sub_f16_e32 v50, v50, v62
	;; [unrolled: 1-line block ×5, first 2 shown]
	v_pack_b32_f16 v48, v57, v48
	v_add_f16_e32 v57, v4, v3
	v_pack_b32_f16 v55, v69, v64
	v_pack_b32_f16 v58, v58, v61
	;; [unrolled: 1-line block ×3, first 2 shown]
	v_add_f16_e32 v50, v7, v6
	v_pack_b32_f16 v47, v47, v49
	v_fma_f16 v49, -0.5, v57, v17
	v_sub_f16_e32 v57, v6, v3
	v_sub_f16_e32 v61, v7, v4
	v_pk_add_f16 v70, v9, v45
	s_waitcnt vmcnt(0)
	v_pk_add_f16 v73, v23, v13 neg_lo:[0,1] neg_hi:[0,1]
	ds_write2_b32 v1, v55, v77 offset0:25 offset1:26
	v_add_f16_e32 v55, v6, v17
	v_fmac_f16_e32 v17, -0.5, v50
	v_sub_f16_e32 v50, v10, v8
	v_sub_f16_e32 v62, v3, v6
	;; [unrolled: 1-line block ×3, first 2 shown]
	v_add_f16_e32 v57, v61, v57
	v_pk_fma_f16 v61, v70, 0.5, v44 op_sel_hi:[1,0,1] neg_lo:[1,0,0] neg_hi:[1,0,0]
	v_pk_mul_f16 v70, 0x3b9c, v73 op_sel_hi:[0,1]
	v_pk_add_f16 v75, v45, v9 neg_lo:[0,1] neg_hi:[0,1]
	v_fmamk_f16 v69, v50, 0xbb9c, v17
	v_sub_f16_e32 v74, v11, v5
	v_fmac_f16_e32 v17, 0x3b9c, v50
	v_add_f16_e32 v62, v64, v62
	v_pk_add_f16 v64, v23, v45 neg_lo:[0,1] neg_hi:[0,1]
	v_pk_add_f16 v76, v13, v9 neg_lo:[0,1] neg_hi:[0,1]
	v_pk_add_f16 v77, v70, v61 op_sel:[1,0] op_sel_hi:[0,1]
	v_pk_mul_f16 v78, 0x38b4, v75 op_sel_hi:[0,1]
	v_pk_add_f16 v61, v61, v70 op_sel:[0,1] op_sel_hi:[1,0] neg_lo:[0,1] neg_hi:[0,1]
	v_fmac_f16_e32 v69, 0x38b4, v74
	v_fmac_f16_e32 v17, 0xb8b4, v74
	v_pk_add_f16 v64, v76, v64
	v_pk_add_f16 v70, v77, v78 op_sel:[0,1] op_sel_hi:[1,0] neg_lo:[0,1] neg_hi:[0,1]
	v_pk_add_f16 v61, v78, v61 op_sel:[1,0] op_sel_hi:[0,1]
	v_pk_add_f16 v76, v45, v23 neg_lo:[0,1] neg_hi:[0,1]
	v_pk_add_f16 v77, v9, v13 neg_lo:[0,1] neg_hi:[0,1]
	v_fmac_f16_e32 v69, 0x34f2, v62
	v_fmac_f16_e32 v17, 0x34f2, v62
	v_pk_fma_f16 v78, 0x34f2, v64, v61 op_sel_hi:[0,1,1]
	v_pk_fma_f16 v70, 0x34f2, v64, v70 op_sel_hi:[0,1,1]
	v_pk_add_f16 v61, v77, v76
	v_lshrrev_b32_e32 v76, 16, v44
	v_add_f16_sdwa v62, v13, v23 dst_sel:DWORD dst_unused:UNUSED_PAD src0_sel:WORD_1 src1_sel:WORD_1
	v_mul_f16_e32 v64, 0x34f2, v78
	v_lshrrev_b32_e32 v77, 16, v70
	v_mul_f16_e32 v80, 0x34f2, v70
	v_lshrrev_b32_e32 v81, 16, v78
	v_add_f16_sdwa v82, v45, v76 dst_sel:DWORD dst_unused:UNUSED_PAD src0_sel:WORD_1 src1_sel:DWORD
	v_fmac_f16_e32 v76, -0.5, v62
	v_add_f16_e32 v62, v13, v23
	v_fmac_f16_e32 v64, 0x3b9c, v77
	v_fma_f16 v77, v81, 0x3b9c, -v80
	v_sub_f16_sdwa v80, v45, v23 dst_sel:DWORD dst_unused:UNUSED_PAD src0_sel:WORD_1 src1_sel:WORD_1
	v_sub_f16_sdwa v81, v9, v13 dst_sel:DWORD dst_unused:UNUSED_PAD src0_sel:WORD_1 src1_sel:WORD_1
	v_fma_f16 v62, -0.5, v62, v44
	v_add_f16_e32 v44, v45, v44
	v_bfi_b32 v45, 0xffff, v61, v73
	v_lshrrev_b32_e32 v61, 16, v75
	v_fmamk_f16 v86, v75, 0xbb9c, v76
	v_add_f16_e32 v80, v81, v80
	v_add_f16_e32 v55, v3, v55
	v_pk_mul_f16 v45, 0x38b434f2, v45
	v_fmamk_f16 v84, v61, 0x3b9c, v62
	v_fmamk_f16 v85, v74, 0x3b9c, v49
	v_add_f16_e32 v44, v23, v44
	v_fmac_f16_e32 v86, 0xb8b4, v73
	v_fmac_f16_e32 v62, 0xbb9c, v61
	v_add_f16_sdwa v84, v45, v84 dst_sel:DWORD dst_unused:UNUSED_PAD src0_sel:WORD_1 src1_sel:DWORD
	v_add_f16_e32 v55, v4, v55
	v_fmac_f16_e32 v85, 0x38b4, v50
	v_add_f16_e32 v44, v13, v44
	v_fmac_f16_e32 v86, 0x34f2, v80
	v_add_f16_e32 v84, v45, v84
	v_sub_f16_sdwa v61, v62, v45 dst_sel:DWORD dst_unused:UNUSED_PAD src0_sel:DWORD src1_sel:WORD_1
	v_add_f16_e32 v55, v7, v55
	v_fmac_f16_e32 v85, 0x34f2, v57
	v_fmac_f16_e32 v76, 0x3b9c, v75
	v_mul_f16_e32 v62, 0x3a79, v84
	v_add_f16_e32 v44, v9, v44
	v_fmac_f16_e32 v49, 0xbb9c, v74
	v_add_f16_e32 v81, v69, v64
	v_add_f16_e32 v83, v17, v77
	v_fmac_f16_e32 v62, 0x38b4, v86
	v_fmac_f16_e32 v76, 0x38b4, v73
	v_add_f16_e32 v73, v45, v61
	v_add_f16_e32 v45, v44, v55
	v_fmac_f16_e32 v49, 0xb8b4, v50
	v_add_f16_e32 v61, v85, v62
	ds_write2_b32 v1, v48, v58 offset0:27 offset1:28
	v_pack_b32_f16 v48, v81, v83
	v_sub_f16_e32 v58, v69, v64
	v_fmac_f16_e32 v49, 0x34f2, v57
	v_pack_b32_f16 v45, v45, v61
	v_sub_f16_e32 v57, v85, v62
	ds_write2_b32 v1, v46, v47 offset0:4 offset1:29
	v_add_f16_e32 v46, v42, v30
	v_sub_f16_e32 v61, v20, v25
	ds_write2_b32 v1, v45, v48 offset0:50 offset1:51
	v_pack_b32_f16 v45, v57, v58
	v_sub_f16_e32 v57, v32, v26
	v_add_f16_e32 v26, v41, v46
	v_add_f16_e32 v32, v36, v41
	;; [unrolled: 1-line block ×3, first 2 shown]
	v_fmac_f16_e32 v76, 0x34f2, v80
	v_mul_f16_e32 v50, 0x3a79, v73
	v_add_f16_e32 v25, v36, v26
	v_fma_f16 v69, -0.5, v32, v30
	v_fmac_f16_e32 v30, -0.5, v46
	v_add_f16_sdwa v20, v43, v60 dst_sel:DWORD dst_unused:UNUSED_PAD src0_sel:WORD_1 src1_sel:DWORD
	v_sub_f16_e32 v26, v42, v41
	v_sub_f16_e32 v32, v41, v42
	v_add_f16_e32 v62, v34, v25
	v_sub_f16_e32 v25, v34, v36
	v_fmamk_f16 v41, v61, 0x3b9c, v30
	v_fmac_f16_e32 v30, 0xbb9c, v61
	v_sub_f16_e32 v34, v36, v34
	v_fma_f16 v50, v76, 0x38b4, -v50
	v_add_f16_sdwa v20, v35, v20 dst_sel:DWORD dst_unused:UNUSED_PAD src0_sel:WORD_1 src1_sel:DWORD
	v_add_f16_e32 v74, v25, v26
	v_fmac_f16_e32 v41, 0xb8b4, v57
	v_fmac_f16_e32 v30, 0x38b4, v57
	v_add_f16_e32 v25, v34, v32
	v_sub_f16_e32 v44, v55, v44
	v_add_f16_e32 v55, v49, v50
	v_sub_f16_e32 v26, v49, v50
	v_sub_f16_e32 v17, v17, v77
	v_fmamk_f16 v75, v57, 0xbb9c, v69
	v_add_f16_sdwa v80, v31, v20 dst_sel:DWORD dst_unused:UNUSED_PAD src0_sel:WORD_1 src1_sel:DWORD
	v_pack_b32_f16 v20, v30, v41
	v_mul_f16_e32 v25, 0x34f2, v25
	v_pack_b32_f16 v44, v55, v44
	v_fmac_f16_e32 v69, 0x3b9c, v57
	v_pack_b32_f16 v17, v17, v26
	v_mul_f16_e32 v63, 0xb8b4, v63
	v_fmac_f16_e32 v75, 0xb8b4, v61
	v_pk_add_f16 v77, v25, v20 op_sel_hi:[0,1]
	v_pk_mul_f16 v25, 0x34f23b9c, v54
	ds_write2_b32 v1, v44, v45 offset0:52 offset1:53
	ds_write_b32 v1, v17 offset:216
	v_fmac_f16_e32 v69, 0x38b4, v61
	v_mul_f16_e32 v44, 0x3a79, v51
	v_fmac_f16_e32 v63, 0x3a79, v52
	v_fmac_f16_e32 v75, 0x34f2, v74
	v_pk_fma_f16 v81, 0x34f2bb9c, v53, v25 op_sel:[0,0,1] op_sel_hi:[1,1,0] neg_lo:[0,0,1] neg_hi:[0,0,1]
	v_fmac_f16_e32 v69, 0x34f2, v74
	v_fma_f16 v74, v59, 0xb8b4, -v44
	v_add_f16_e32 v30, v80, v62
	v_add_f16_e32 v26, v75, v63
	v_lshlrev_b32_e32 v20, 1, v16
	v_pk_add_f16 v17, v77, v81
	v_sub_f16_e32 v80, v62, v80
	v_bfi_b32 v75, 0xffff, v75, v77
	v_bfi_b32 v87, 0xffff, v63, v81
	v_add_f16_e32 v88, v69, v74
	v_pack_b32_f16 v83, v30, v26
	v_add3_u32 v25, 0, v20, v56
	v_add_nc_u32_e32 v26, v27, v20
	v_alignbit_b32 v85, v17, v17, 16
	v_pk_add_f16 v75, v75, v87 neg_lo:[0,1] neg_hi:[0,1]
	v_pack_b32_f16 v80, v88, v80
	v_lshl_add_u32 v17, v21, 1, v27
	s_waitcnt lgkmcnt(0)
	s_barrier
	buffer_gl0_inv
	ds_read_u16 v36, v26
	ds_read_u16 v35, v25 offset:10
	ds_read_u16 v34, v25 offset:20
	;; [unrolled: 1-line block ×27, first 2 shown]
	ds_read_u16 v62, v17
	ds_read_u16 v50, v25 offset:290
	s_waitcnt lgkmcnt(0)
	s_barrier
	buffer_gl0_inv
	ds_write2_b32 v1, v83, v85 offset1:1
	ds_write2_b32 v1, v80, v75 offset0:2 offset1:3
	v_add_f16_e32 v75, v37, v38
	v_sub_f16_e32 v69, v69, v74
	v_add_f16_e32 v74, v39, v2
	v_sub_f16_e32 v15, v15, v22
	v_sub_f16_e32 v12, v12, v14
	v_fma_f16 v14, -0.5, v75, v2
	v_sub_f16_e32 v22, v39, v38
	v_sub_f16_e32 v80, v33, v37
	v_add_f16_e32 v74, v38, v74
	v_add_f16_e32 v83, v33, v39
	v_sub_f16_e32 v38, v38, v39
	v_fmamk_f16 v39, v15, 0xbb9c, v14
	v_fmac_f16_e32 v14, 0x3b9c, v15
	v_add_f16_e32 v22, v80, v22
	v_add_f16_e32 v74, v37, v74
	v_fmac_f16_e32 v2, -0.5, v83
	v_fmac_f16_e32 v39, 0xb8b4, v12
	v_fmac_f16_e32 v14, 0x38b4, v12
	v_sub_f16_e32 v6, v6, v7
	v_add_f16_e32 v74, v33, v74
	v_sub_f16_e32 v33, v37, v33
	v_add_f16_sdwa v37, v40, v68 dst_sel:DWORD dst_unused:UNUSED_PAD src0_sel:WORD_1 src1_sel:DWORD
	v_fmac_f16_e32 v39, 0x34f2, v22
	v_fmac_f16_e32 v14, 0x34f2, v22
	v_mul_f16_e32 v22, 0x3a79, v67
	v_fmamk_f16 v40, v12, 0x3b9c, v2
	v_fmac_f16_e32 v2, 0xbb9c, v12
	v_add_f16_sdwa v12, v29, v37 dst_sel:DWORD dst_unused:UNUSED_PAD src0_sel:WORD_1 src1_sel:DWORD
	v_add_f16_e32 v37, v8, v10
	v_fma_f16 v22, v71, 0xb8b4, -v22
	v_add_f16_e32 v67, v5, v11
	v_sub_f16_e32 v3, v3, v4
	v_add_f16_sdwa v12, v28, v12 dst_sel:DWORD dst_unused:UNUSED_PAD src0_sel:WORD_1 src1_sel:DWORD
	v_fma_f16 v4, -0.5, v37, v0
	v_add_f16_e32 v28, v14, v22
	v_sub_f16_e32 v14, v14, v22
	v_add_f16_e32 v22, v11, v0
	v_add_f16_e32 v29, v33, v38
	v_sub_f16_e32 v7, v11, v10
	v_sub_f16_e32 v38, v5, v8
	v_fmac_f16_e32 v0, -0.5, v67
	v_add_f16_e32 v22, v10, v22
	v_sub_f16_e32 v10, v10, v11
	v_fmamk_f16 v11, v6, 0xbb9c, v4
	v_fmac_f16_e32 v4, 0x3b9c, v6
	v_fmac_f16_e32 v40, 0xb8b4, v15
	v_add_f16_e32 v22, v8, v22
	v_fmac_f16_e32 v2, 0x38b4, v15
	v_fmac_f16_e32 v11, 0xb8b4, v3
	;; [unrolled: 1-line block ×3, first 2 shown]
	v_mul_f16_e32 v33, 0xb8b4, v72
	v_add_f16_e32 v22, v5, v22
	v_sub_f16_e32 v5, v8, v5
	v_add_f16_sdwa v8, v23, v82 dst_sel:DWORD dst_unused:UNUSED_PAD src0_sel:WORD_1 src1_sel:DWORD
	v_fmamk_f16 v23, v3, 0x3b9c, v0
	v_fmac_f16_e32 v0, 0xbb9c, v3
	v_pack_b32_f16 v2, v2, v40
	v_add_f16_e32 v5, v5, v10
	v_add_f16_sdwa v3, v13, v8 dst_sel:DWORD dst_unused:UNUSED_PAD src0_sel:WORD_1 src1_sel:DWORD
	v_fmac_f16_e32 v23, 0xb8b4, v6
	v_fmac_f16_e32 v0, 0x38b4, v6
	v_mul_f16_e32 v8, 0x34f2, v29
	v_fmac_f16_e32 v33, 0x3a79, v79
	v_add_f16_sdwa v3, v9, v3 dst_sel:DWORD dst_unused:UNUSED_PAD src0_sel:WORD_1 src1_sel:DWORD
	v_pk_mul_f16 v9, 0x34f23b9c, v66
	v_add_f16_e32 v7, v38, v7
	v_pk_add_f16 v2, v8, v2 op_sel_hi:[0,1]
	v_pack_b32_f16 v0, v0, v23
	v_mul_f16_e32 v5, 0x34f2, v5
	v_pk_fma_f16 v8, 0x34f2bb9c, v65, v9 op_sel:[0,0,1] op_sel_hi:[1,1,0] neg_lo:[0,0,1] neg_hi:[0,0,1]
	v_pk_mul_f16 v23, 0x34f23b9c, v78
	v_add_f16_e32 v15, v12, v74
	v_fmac_f16_e32 v11, 0x34f2, v7
	v_fmac_f16_e32 v4, 0x34f2, v7
	v_mul_f16_e32 v7, 0xb8b4, v84
	v_mul_f16_e32 v6, 0x3a79, v76
	v_add_f16_e32 v10, v3, v22
	v_sub_f16_e32 v3, v22, v3
	v_add_f16_e32 v13, v39, v33
	v_bfi_b32 v22, 0xffff, v39, v2
	v_pk_add_f16 v29, v2, v8
	v_sub_f16_e32 v2, v2, v8
	v_bfi_b32 v8, 0xffff, v33, v8
	v_pk_add_f16 v0, v5, v0 op_sel_hi:[0,1]
	v_pk_fma_f16 v5, 0x34f2bb9c, v70, v23 op_sel:[0,0,1] op_sel_hi:[1,1,0] neg_lo:[0,0,1] neg_hi:[0,0,1]
	v_fmac_f16_e32 v7, 0x3a79, v86
	v_fma_f16 v6, v73, 0xb8b4, -v6
	v_pack_b32_f16 v13, v15, v13
	v_alignbit_b32 v23, v29, v29, 16
	v_pk_add_f16 v8, v22, v8 neg_lo:[0,1] neg_hi:[0,1]
	v_pk_add_f16 v22, v0, v5
	v_add_f16_e32 v9, v4, v6
	v_sub_f16_e32 v29, v0, v5
	ds_write2_b32 v1, v13, v23 offset0:25 offset1:26
	v_pack_b32_f16 v13, v2, v14
	v_bfi_b32 v0, 0xffff, v11, v0
	v_bfi_b32 v2, 0xffff, v7, v5
	v_alignbit_b32 v5, v22, v22, 16
	v_lshlrev_b32_e32 v22, 2, v16
	v_mov_b32_e32 v23, 0
	v_sub_f16_e32 v12, v74, v12
	v_sub_f16_e32 v4, v4, v6
	;; [unrolled: 1-line block ×3, first 2 shown]
	v_add_f16_e32 v15, v11, v7
	v_pk_add_f16 v0, v0, v2 neg_lo:[0,1] neg_hi:[0,1]
	v_pack_b32_f16 v9, v9, v3
	v_lshlrev_b64 v[2:3], 2, v[22:23]
	v_pack_b32_f16 v6, v6, v69
	v_pack_b32_f16 v12, v28, v12
	;; [unrolled: 1-line block ×3, first 2 shown]
	v_add_nc_u32_e32 v33, 20, v16
	v_add_nc_u32_e32 v28, 5, v16
	v_add_co_u32 v2, s0, s8, v2
	ds_write2_b32 v1, v12, v8 offset0:27 offset1:28
	ds_write2_b32 v1, v6, v13 offset0:4 offset1:29
	;; [unrolled: 1-line block ×4, first 2 shown]
	v_pack_b32_f16 v0, v29, v4
	v_add_co_ci_u32_e64 v3, s0, s9, v3, s0
	v_and_b32_e32 v8, 0xff, v33
	v_lshlrev_b32_e32 v22, 2, v28
	ds_write_b32 v1, v0 offset:216
	s_waitcnt lgkmcnt(0)
	s_barrier
	buffer_gl0_inv
	global_load_dwordx4 v[0:3], v[2:3], off
	v_mul_lo_u16 v8, 0xcd, v8
	v_add_nc_u32_e32 v29, 25, v16
	v_lshlrev_b64 v[4:5], 2, v[22:23]
	v_lshrrev_b16 v8, 11, v8
	v_and_b32_e32 v9, 0xff, v29
	v_add_co_u32 v4, s0, s8, v4
	v_mul_lo_u16 v8, v8, 10
	v_add_co_ci_u32_e64 v5, s0, s9, v5, s0
	v_sub_nc_u16 v8, v33, v8
	global_load_dwordx4 v[4:7], v[4:5], off
	v_and_b32_e32 v22, 0xff, v8
	v_mul_lo_u16 v8, 0xcd, v9
	v_lshlrev_b32_e32 v9, 4, v22
	v_lshrrev_b16 v8, 11, v8
	v_lshl_add_u32 v22, v22, 1, v27
	global_load_dwordx4 v[12:15], v9, s[8:9]
	v_mul_lo_u16 v8, v8, 10
	v_sub_nc_u16 v8, v29, v8
	v_and_b32_e32 v37, 0xff, v8
	v_lshlrev_b32_e32 v8, 4, v37
	global_load_dwordx4 v[8:11], v8, s[8:9]
	ds_read_u16 v68, v25 offset:60
	ds_read_u16 v67, v25 offset:120
	;; [unrolled: 1-line block ×5, first 2 shown]
	ds_read_u16 v39, v17
	ds_read_u16 v65, v25 offset:50
	ds_read_u16 v71, v25 offset:130
	;; [unrolled: 1-line block ×8, first 2 shown]
	s_waitcnt vmcnt(3) lgkmcnt(13)
	v_mul_f16_sdwa v69, v68, v0 dst_sel:DWORD dst_unused:UNUSED_PAD src0_sel:DWORD src1_sel:WORD_1
	v_mul_f16_sdwa v70, v60, v0 dst_sel:DWORD dst_unused:UNUSED_PAD src0_sel:DWORD src1_sel:WORD_1
	s_waitcnt lgkmcnt(12)
	v_mul_f16_sdwa v76, v67, v1 dst_sel:DWORD dst_unused:UNUSED_PAD src0_sel:DWORD src1_sel:WORD_1
	v_mul_f16_sdwa v77, v64, v1 dst_sel:DWORD dst_unused:UNUSED_PAD src0_sel:DWORD src1_sel:WORD_1
	v_mul_f16_sdwa v86, v61, v3 dst_sel:DWORD dst_unused:UNUSED_PAD src0_sel:DWORD src1_sel:WORD_1
	v_fma_f16 v60, v60, v0, -v69
	v_fmac_f16_e32 v70, v68, v0
	v_fma_f16 v64, v64, v1, -v76
	v_fmac_f16_e32 v77, v67, v1
	ds_read_u16 v67, v25 offset:210
	ds_read_u16 v68, v25 offset:220
	ds_read_u16 v69, v25 offset:230
	ds_read_u16 v76, v25 offset:200
	ds_read_u16 v80, v25 offset:190
	ds_read_u16 v81, v25 offset:170
	ds_read_u16 v85, v25 offset:260
	s_waitcnt lgkmcnt(17)
	v_mul_f16_sdwa v84, v40, v3 dst_sel:DWORD dst_unused:UNUSED_PAD src0_sel:DWORD src1_sel:WORD_1
	s_waitcnt lgkmcnt(15)
	v_mul_f16_sdwa v90, v39, v0 dst_sel:DWORD dst_unused:UNUSED_PAD src0_sel:DWORD src1_sel:WORD_1
	v_fmac_f16_e32 v86, v40, v3
	v_mul_f16_sdwa v40, v62, v0 dst_sel:DWORD dst_unused:UNUSED_PAD src0_sel:DWORD src1_sel:WORD_1
	v_mul_f16_sdwa v82, v66, v2 dst_sel:DWORD dst_unused:UNUSED_PAD src0_sel:DWORD src1_sel:WORD_1
	;; [unrolled: 1-line block ×3, first 2 shown]
	ds_read_u16 v87, v25 offset:270
	ds_read_u16 v88, v25 offset:280
	;; [unrolled: 1-line block ×3, first 2 shown]
	v_fma_f16 v62, v62, v0, -v90
	v_fmac_f16_e32 v40, v39, v0
	ds_read_u16 v0, v25 offset:250
	v_fma_f16 v63, v63, v2, -v82
	v_fmac_f16_e32 v83, v66, v2
	s_waitcnt lgkmcnt(16)
	v_mul_f16_sdwa v66, v72, v1 dst_sel:DWORD dst_unused:UNUSED_PAD src0_sel:DWORD src1_sel:WORD_1
	v_mul_f16_sdwa v82, v54, v1 dst_sel:DWORD dst_unused:UNUSED_PAD src0_sel:DWORD src1_sel:WORD_1
	v_fma_f16 v61, v61, v3, -v84
	v_mul_f16_sdwa v39, v55, v2 dst_sel:DWORD dst_unused:UNUSED_PAD src0_sel:DWORD src1_sel:WORD_1
	s_waitcnt lgkmcnt(7)
	v_mul_f16_sdwa v84, v76, v2 dst_sel:DWORD dst_unused:UNUSED_PAD src0_sel:DWORD src1_sel:WORD_1
	v_fma_f16 v66, v54, v1, -v66
	v_fmac_f16_e32 v82, v72, v1
	s_waitcnt lgkmcnt(4)
	v_mul_f16_sdwa v1, v85, v3 dst_sel:DWORD dst_unused:UNUSED_PAD src0_sel:DWORD src1_sel:WORD_1
	v_mul_f16_sdwa v72, v58, v3 dst_sel:DWORD dst_unused:UNUSED_PAD src0_sel:DWORD src1_sel:WORD_1
	v_fma_f16 v84, v55, v2, -v84
	v_fmac_f16_e32 v39, v76, v2
	s_waitcnt vmcnt(2)
	v_mul_f16_sdwa v2, v38, v4 dst_sel:DWORD dst_unused:UNUSED_PAD src0_sel:DWORD src1_sel:WORD_1
	v_fma_f16 v1, v58, v3, -v1
	v_fmac_f16_e32 v72, v85, v3
	v_mul_f16_sdwa v3, v53, v4 dst_sel:DWORD dst_unused:UNUSED_PAD src0_sel:DWORD src1_sel:WORD_1
	v_mul_f16_sdwa v54, v71, v5 dst_sel:DWORD dst_unused:UNUSED_PAD src0_sel:DWORD src1_sel:WORD_1
	;; [unrolled: 1-line block ×4, first 2 shown]
	v_fma_f16 v2, v53, v4, -v2
	v_mul_f16_sdwa v53, v80, v6 dst_sel:DWORD dst_unused:UNUSED_PAD src0_sel:DWORD src1_sel:WORD_1
	v_fmac_f16_e32 v3, v38, v4
	v_fma_f16 v38, v57, v5, -v54
	s_waitcnt lgkmcnt(0)
	v_mul_f16_sdwa v54, v0, v7 dst_sel:DWORD dst_unused:UNUSED_PAD src0_sel:DWORD src1_sel:WORD_1
	v_fmac_f16_e32 v76, v0, v7
	v_mul_f16_sdwa v85, v47, v4 dst_sel:DWORD dst_unused:UNUSED_PAD src0_sel:DWORD src1_sel:WORD_1
	v_mul_f16_sdwa v0, v73, v5 dst_sel:DWORD dst_unused:UNUSED_PAD src0_sel:DWORD src1_sel:WORD_1
	v_fmac_f16_e32 v58, v71, v5
	v_mul_f16_sdwa v71, v59, v6 dst_sel:DWORD dst_unused:UNUSED_PAD src0_sel:DWORD src1_sel:WORD_1
	v_fma_f16 v59, v59, v6, -v53
	v_mul_f16_sdwa v53, v78, v4 dst_sel:DWORD dst_unused:UNUSED_PAD src0_sel:DWORD src1_sel:WORD_1
	v_fmac_f16_e32 v85, v78, v4
	v_fma_f16 v78, v48, v5, -v0
	v_mul_f16_sdwa v0, v87, v7 dst_sel:DWORD dst_unused:UNUSED_PAD src0_sel:DWORD src1_sel:WORD_1
	v_mul_f16_sdwa v93, v52, v7 dst_sel:DWORD dst_unused:UNUSED_PAD src0_sel:DWORD src1_sel:WORD_1
	v_fma_f16 v90, v47, v4, -v53
	s_waitcnt vmcnt(1)
	v_mul_f16_sdwa v4, v79, v12 dst_sel:DWORD dst_unused:UNUSED_PAD src0_sel:DWORD src1_sel:WORD_1
	v_mul_f16_sdwa v55, v42, v12 dst_sel:DWORD dst_unused:UNUSED_PAD src0_sel:DWORD src1_sel:WORD_1
	v_fma_f16 v96, v52, v7, -v0
	v_mul_f16_sdwa v0, v74, v13 dst_sel:DWORD dst_unused:UNUSED_PAD src0_sel:DWORD src1_sel:WORD_1
	v_fmac_f16_e32 v93, v87, v7
	v_fma_f16 v87, v42, v12, -v4
	v_mul_f16_sdwa v57, v41, v13 dst_sel:DWORD dst_unused:UNUSED_PAD src0_sel:DWORD src1_sel:WORD_1
	v_mul_f16_sdwa v4, v68, v14 dst_sel:DWORD dst_unused:UNUSED_PAD src0_sel:DWORD src1_sel:WORD_1
	v_fmac_f16_e32 v55, v79, v12
	v_mul_f16_sdwa v53, v43, v14 dst_sel:DWORD dst_unused:UNUSED_PAD src0_sel:DWORD src1_sel:WORD_1
	v_fma_f16 v79, v41, v13, -v0
	v_mul_f16_sdwa v0, v88, v15 dst_sel:DWORD dst_unused:UNUSED_PAD src0_sel:DWORD src1_sel:WORD_1
	v_mul_f16_sdwa v91, v48, v5 dst_sel:DWORD dst_unused:UNUSED_PAD src0_sel:DWORD src1_sel:WORD_1
	;; [unrolled: 1-line block ×3, first 2 shown]
	v_fmac_f16_e32 v57, v74, v13
	v_fma_f16 v74, v43, v14, -v4
	v_fmac_f16_e32 v53, v68, v14
	s_waitcnt vmcnt(0)
	v_mul_f16_sdwa v4, v75, v8 dst_sel:DWORD dst_unused:UNUSED_PAD src0_sel:DWORD src1_sel:WORD_1
	v_fma_f16 v68, v45, v15, -v0
	v_mul_f16_sdwa v0, v81, v9 dst_sel:DWORD dst_unused:UNUSED_PAD src0_sel:DWORD src1_sel:WORD_1
	v_mul_f16_sdwa v92, v49, v6 dst_sel:DWORD dst_unused:UNUSED_PAD src0_sel:DWORD src1_sel:WORD_1
	v_fmac_f16_e32 v91, v73, v5
	v_fma_f16 v73, v49, v6, -v47
	v_mul_f16_sdwa v49, v46, v8 dst_sel:DWORD dst_unused:UNUSED_PAD src0_sel:DWORD src1_sel:WORD_1
	v_fma_f16 v52, v46, v8, -v4
	v_fma_f16 v46, v51, v9, -v0
	v_mul_f16_sdwa v0, v69, v10 dst_sel:DWORD dst_unused:UNUSED_PAD src0_sel:DWORD src1_sel:WORD_1
	v_mul_f16_sdwa v4, v89, v11 dst_sel:DWORD dst_unused:UNUSED_PAD src0_sel:DWORD src1_sel:WORD_1
	v_add_f16_e32 v5, v64, v63
	v_fmac_f16_e32 v92, v67, v6
	ds_read_u16 v67, v26
	ds_read_u16 v94, v25 offset:10
	ds_read_u16 v95, v25 offset:20
	;; [unrolled: 1-line block ×4, first 2 shown]
	v_fmac_f16_e32 v71, v80, v6
	v_fma_f16 v80, v56, v7, -v54
	v_mul_f16_sdwa v54, v45, v15 dst_sel:DWORD dst_unused:UNUSED_PAD src0_sel:DWORD src1_sel:WORD_1
	v_mul_f16_sdwa v45, v51, v9 dst_sel:DWORD dst_unused:UNUSED_PAD src0_sel:DWORD src1_sel:WORD_1
	v_fma_f16 v51, v44, v10, -v0
	v_fma_f16 v56, v50, v11, -v4
	v_fma_f16 v0, -0.5, v5, v36
	v_sub_f16_e32 v4, v70, v86
	v_sub_f16_e32 v5, v60, v64
	;; [unrolled: 1-line block ×3, first 2 shown]
	v_add_f16_e32 v7, v60, v61
	v_fmac_f16_e32 v49, v75, v8
	v_mul_f16_sdwa v43, v44, v10 dst_sel:DWORD dst_unused:UNUSED_PAD src0_sel:DWORD src1_sel:WORD_1
	v_fmac_f16_e32 v45, v81, v9
	v_mul_f16_sdwa v44, v50, v11 dst_sel:DWORD dst_unused:UNUSED_PAD src0_sel:DWORD src1_sel:WORD_1
	v_fmamk_f16 v8, v4, 0x3b9c, v0
	v_sub_f16_e32 v9, v77, v83
	v_add_f16_e32 v5, v5, v6
	v_add_f16_e32 v6, v36, v60
	v_fmac_f16_e32 v36, -0.5, v7
	v_fmac_f16_e32 v0, 0xbb9c, v4
	v_fmac_f16_e32 v43, v69, v10
	v_fmac_f16_e32 v44, v89, v11
	v_fmac_f16_e32 v8, 0x38b4, v9
	v_sub_f16_e32 v7, v64, v60
	v_sub_f16_e32 v10, v63, v61
	v_fmamk_f16 v11, v9, 0xbb9c, v36
	v_fmac_f16_e32 v36, 0x3b9c, v9
	v_add_f16_e32 v6, v6, v64
	v_fmac_f16_e32 v0, 0xb8b4, v9
	v_add_f16_e32 v7, v7, v10
	v_fmac_f16_e32 v11, 0x38b4, v4
	v_fmac_f16_e32 v36, 0xb8b4, v4
	v_add_f16_e32 v4, v6, v63
	v_fmac_f16_e32 v8, 0x34f2, v5
	v_fmac_f16_e32 v0, 0x34f2, v5
	s_waitcnt lgkmcnt(4)
	v_add_f16_e32 v5, v67, v70
	v_add_f16_e32 v6, v77, v83
	v_fmac_f16_e32 v11, 0x34f2, v7
	v_fmac_f16_e32 v36, 0x34f2, v7
	v_sub_f16_e32 v7, v60, v61
	v_add_f16_e32 v5, v5, v77
	v_fma_f16 v50, -0.5, v6, v67
	v_add_f16_e32 v12, v70, v86
	v_sub_f16_e32 v9, v70, v77
	v_sub_f16_e32 v10, v86, v83
	;; [unrolled: 1-line block ×3, first 2 shown]
	v_add_f16_e32 v5, v5, v83
	v_fmamk_f16 v60, v7, 0xbb9c, v50
	v_fmac_f16_e32 v50, 0x3b9c, v7
	v_fmac_f16_e32 v67, -0.5, v12
	v_add_f16_e32 v4, v4, v61
	v_add_f16_e32 v9, v9, v10
	v_sub_f16_e32 v10, v77, v70
	v_add_f16_e32 v61, v5, v86
	v_fmac_f16_e32 v60, 0xb8b4, v6
	v_fmac_f16_e32 v50, 0x38b4, v6
	v_sub_f16_e32 v5, v83, v86
	v_fmamk_f16 v63, v6, 0x3b9c, v67
	v_fmac_f16_e32 v67, 0xbb9c, v6
	v_fmac_f16_e32 v60, 0x34f2, v9
	;; [unrolled: 1-line block ×3, first 2 shown]
	v_add_f16_e32 v6, v38, v59
	v_add_f16_e32 v5, v10, v5
	v_fmac_f16_e32 v63, 0xb8b4, v7
	v_sub_f16_e32 v9, v2, v38
	v_sub_f16_e32 v10, v80, v59
	v_fmac_f16_e32 v67, 0x38b4, v7
	v_add_f16_e32 v7, v2, v80
	v_fma_f16 v6, -0.5, v6, v35
	v_sub_f16_e32 v12, v3, v76
	v_add_f16_e32 v9, v9, v10
	v_add_f16_e32 v10, v35, v2
	v_sub_f16_e32 v14, v58, v71
	v_fmac_f16_e32 v35, -0.5, v7
	v_fmac_f16_e32 v54, v88, v15
	v_fmamk_f16 v13, v12, 0x3b9c, v6
	v_fmac_f16_e32 v6, 0xbb9c, v12
	v_sub_f16_e32 v7, v38, v2
	v_sub_f16_e32 v15, v59, v80
	v_fmamk_f16 v41, v14, 0xbb9c, v35
	v_fmac_f16_e32 v35, 0x3b9c, v14
	v_fmac_f16_e32 v13, 0x38b4, v14
	;; [unrolled: 1-line block ×3, first 2 shown]
	v_add_f16_e32 v7, v7, v15
	v_fmac_f16_e32 v41, 0x38b4, v12
	v_fmac_f16_e32 v35, 0xb8b4, v12
	;; [unrolled: 1-line block ×4, first 2 shown]
	v_add_f16_e32 v9, v58, v71
	v_fmac_f16_e32 v41, 0x34f2, v7
	v_fmac_f16_e32 v35, 0x34f2, v7
	s_waitcnt lgkmcnt(3)
	v_add_f16_e32 v7, v94, v3
	v_add_f16_e32 v10, v10, v38
	v_sub_f16_e32 v2, v2, v80
	v_fma_f16 v64, -0.5, v9, v94
	v_add_f16_e32 v14, v3, v76
	v_add_f16_e32 v7, v7, v58
	v_fmac_f16_e32 v63, 0x34f2, v5
	v_fmac_f16_e32 v67, 0x34f2, v5
	v_add_f16_e32 v5, v10, v59
	v_sub_f16_e32 v10, v3, v58
	v_sub_f16_e32 v12, v76, v71
	;; [unrolled: 1-line block ×3, first 2 shown]
	v_add_f16_e32 v7, v7, v71
	v_fmamk_f16 v59, v2, 0xbb9c, v64
	v_fmac_f16_e32 v64, 0x3b9c, v2
	v_fmac_f16_e32 v94, -0.5, v14
	v_add_f16_e32 v10, v10, v12
	v_sub_f16_e32 v3, v58, v3
	v_add_f16_e32 v58, v7, v76
	v_fmac_f16_e32 v59, 0xb8b4, v9
	v_fmac_f16_e32 v64, 0x38b4, v9
	v_sub_f16_e32 v7, v71, v76
	v_fmamk_f16 v69, v9, 0x3b9c, v94
	v_fmac_f16_e32 v94, 0xbb9c, v9
	v_add_f16_e32 v9, v66, v84
	v_fmac_f16_e32 v59, 0x34f2, v10
	v_fmac_f16_e32 v64, 0x34f2, v10
	v_add_f16_e32 v3, v3, v7
	v_fmac_f16_e32 v69, 0xb8b4, v2
	v_sub_f16_e32 v7, v62, v66
	v_sub_f16_e32 v10, v1, v84
	v_fma_f16 v9, -0.5, v9, v34
	v_sub_f16_e32 v12, v40, v72
	v_fmac_f16_e32 v94, 0x38b4, v2
	v_add_f16_e32 v2, v62, v1
	v_add_f16_e32 v7, v7, v10
	;; [unrolled: 1-line block ×3, first 2 shown]
	v_fmamk_f16 v14, v12, 0x3b9c, v9
	v_sub_f16_e32 v15, v82, v39
	v_fmac_f16_e32 v34, -0.5, v2
	v_fmac_f16_e32 v9, 0xbb9c, v12
	v_sub_f16_e32 v2, v66, v62
	v_sub_f16_e32 v38, v84, v1
	v_fmac_f16_e32 v14, 0x38b4, v15
	v_fmamk_f16 v42, v15, 0xbb9c, v34
	v_fmac_f16_e32 v34, 0x3b9c, v15
	v_fmac_f16_e32 v9, 0xb8b4, v15
	s_waitcnt lgkmcnt(2)
	v_add_f16_e32 v15, v95, v40
	v_add_f16_e32 v10, v10, v66
	v_fmac_f16_e32 v42, 0x38b4, v12
	v_fmac_f16_e32 v34, 0xb8b4, v12
	v_add_f16_e32 v2, v2, v38
	v_add_f16_e32 v12, v15, v82
	v_fmac_f16_e32 v69, 0x34f2, v3
	v_fmac_f16_e32 v94, 0x34f2, v3
	;; [unrolled: 1-line block ×3, first 2 shown]
	v_add_f16_e32 v3, v10, v84
	v_fmac_f16_e32 v9, 0x34f2, v7
	v_add_f16_e32 v7, v12, v39
	v_fmac_f16_e32 v42, 0x34f2, v2
	v_fmac_f16_e32 v34, 0x34f2, v2
	v_add_f16_e32 v2, v3, v1
	v_sub_f16_e32 v62, v62, v1
	v_add_f16_e32 v70, v7, v72
	v_add_f16_e32 v1, v82, v39
	v_sub_f16_e32 v3, v40, v82
	v_sub_f16_e32 v7, v82, v40
	;; [unrolled: 1-line block ×3, first 2 shown]
	v_add_f16_e32 v12, v40, v72
	v_sub_f16_e32 v15, v39, v72
	v_add_f16_e32 v38, v78, v73
	v_fma_f16 v72, -0.5, v1, v95
	v_add_f16_e32 v71, v3, v10
	v_fmac_f16_e32 v95, -0.5, v12
	v_add_f16_e32 v7, v7, v15
	v_sub_f16_e32 v10, v90, v78
	v_sub_f16_e32 v12, v96, v73
	v_add_f16_e32 v15, v90, v96
	v_sub_f16_e32 v66, v66, v84
	v_fma_f16 v1, -0.5, v38, v32
	v_sub_f16_e32 v3, v85, v93
	v_sub_f16_e32 v39, v91, v92
	v_add_f16_e32 v10, v10, v12
	v_add_f16_e32 v12, v32, v90
	v_fmac_f16_e32 v32, -0.5, v15
	v_fmamk_f16 v38, v3, 0x3b9c, v1
	v_fmac_f16_e32 v1, 0xbb9c, v3
	v_sub_f16_e32 v15, v78, v90
	v_fmamk_f16 v75, v66, 0x3b9c, v95
	v_sub_f16_e32 v40, v73, v96
	v_fmac_f16_e32 v95, 0xbb9c, v66
	v_fmamk_f16 v76, v39, 0xbb9c, v32
	v_fmac_f16_e32 v32, 0x3b9c, v39
	v_fmac_f16_e32 v38, 0x38b4, v39
	;; [unrolled: 1-line block ×4, first 2 shown]
	v_add_f16_e32 v15, v15, v40
	v_fmac_f16_e32 v95, 0x38b4, v62
	v_fmac_f16_e32 v76, 0x38b4, v3
	;; [unrolled: 1-line block ×3, first 2 shown]
	v_add_f16_e32 v3, v79, v74
	v_fmac_f16_e32 v75, 0x34f2, v7
	v_fmac_f16_e32 v95, 0x34f2, v7
	;; [unrolled: 1-line block ×5, first 2 shown]
	v_fma_f16 v3, -0.5, v3, v31
	v_sub_f16_e32 v7, v55, v54
	v_fmac_f16_e32 v32, 0x34f2, v15
	v_sub_f16_e32 v10, v87, v79
	v_sub_f16_e32 v15, v68, v74
	v_add_f16_e32 v39, v87, v68
	v_fmamk_f16 v40, v7, 0x3b9c, v3
	v_sub_f16_e32 v77, v57, v53
	v_fmac_f16_e32 v3, 0xbb9c, v7
	v_add_f16_e32 v10, v10, v15
	v_add_f16_e32 v15, v31, v87
	v_fmac_f16_e32 v31, -0.5, v39
	v_add_f16_e32 v5, v5, v80
	v_fmac_f16_e32 v40, 0x38b4, v77
	v_fmac_f16_e32 v3, 0xb8b4, v77
	v_sub_f16_e32 v39, v79, v87
	v_sub_f16_e32 v80, v74, v68
	v_fmamk_f16 v81, v77, 0xbb9c, v31
	v_fmac_f16_e32 v31, 0x3b9c, v77
	v_fmac_f16_e32 v40, 0x34f2, v10
	;; [unrolled: 1-line block ×3, first 2 shown]
	v_add_f16_e32 v10, v39, v80
	v_fmac_f16_e32 v81, 0x38b4, v7
	v_sub_f16_e32 v39, v52, v46
	v_sub_f16_e32 v77, v56, v51
	v_add_f16_e32 v80, v46, v51
	v_fmac_f16_e32 v31, 0xb8b4, v7
	v_add_f16_e32 v7, v52, v56
	v_sub_f16_e32 v83, v45, v43
	v_add_f16_e32 v39, v39, v77
	v_fma_f16 v77, -0.5, v80, v30
	v_add_f16_e32 v80, v30, v52
	v_fmac_f16_e32 v30, -0.5, v7
	v_sub_f16_e32 v7, v49, v44
	v_sub_f16_e32 v86, v51, v56
	s_waitcnt lgkmcnt(0)
	s_barrier
	v_fmamk_f16 v84, v83, 0xbb9c, v30
	v_fmamk_f16 v82, v7, 0x3b9c, v77
	v_fmac_f16_e32 v77, 0xbb9c, v7
	v_fmac_f16_e32 v30, 0x3b9c, v83
	buffer_gl0_inv
	ds_write_b16 v25, v4
	ds_write_b16 v25, v8 offset:20
	ds_write_b16 v25, v11 offset:40
	ds_write_b16 v25, v36 offset:60
	ds_write_b16 v25, v0 offset:80
	ds_write_b16 v25, v5 offset:10
	v_fmac_f16_e32 v82, 0x38b4, v83
	v_fmac_f16_e32 v77, 0xb8b4, v83
	v_sub_f16_e32 v83, v46, v52
	v_add_f16_e32 v0, v12, v78
	v_fmac_f16_e32 v84, 0x38b4, v7
	v_fmac_f16_e32 v30, 0xb8b4, v7
	ds_write_b16 v25, v13 offset:30
	ds_write_b16 v25, v41 offset:50
	;; [unrolled: 1-line block ×4, first 2 shown]
	v_add_f16_e32 v83, v83, v86
	v_add_f16_e32 v0, v0, v73
	ds_write_b16 v25, v2 offset:100
	v_add_f16_e32 v2, v15, v79
	ds_write_b16 v25, v14 offset:120
	v_fmac_f16_e32 v84, 0x34f2, v83
	v_fmac_f16_e32 v30, 0x34f2, v83
	v_lshl_add_u32 v83, v24, 1, v27
	v_add_f16_e32 v0, v0, v96
	ds_write_b16 v25, v42 offset:140
	ds_write_b16 v83, v34
	ds_write_b16 v25, v9 offset:180
	ds_write_b16 v25, v0 offset:110
	v_add_f16_e32 v0, v80, v46
	v_add_f16_e32 v2, v2, v74
	v_fmac_f16_e32 v81, 0x34f2, v10
	v_fmac_f16_e32 v31, 0x34f2, v10
	ds_write_b16 v25, v76 offset:150
	v_add_f16_e32 v0, v0, v51
	v_add_f16_e32 v2, v2, v68
	v_lshl_add_u32 v76, v37, 1, v27
	v_fmac_f16_e32 v82, 0x34f2, v39
	v_fmac_f16_e32 v77, 0x34f2, v39
	v_add_f16_e32 v0, v0, v56
	ds_write_b16 v25, v38 offset:130
	ds_write_b16 v25, v32 offset:170
	;; [unrolled: 1-line block ×13, first 2 shown]
	s_waitcnt lgkmcnt(0)
	s_barrier
	buffer_gl0_inv
	ds_read_u16 v0, v26
	ds_read_u16 v1, v25 offset:10
	ds_read_u16 v2, v25 offset:20
	;; [unrolled: 1-line block ×27, first 2 shown]
	ds_read_u16 v36, v17
	ds_read_u16 v42, v25 offset:290
	s_waitcnt lgkmcnt(0)
	s_barrier
	buffer_gl0_inv
	ds_write_b16 v25, v61
	v_fmamk_f16 v61, v62, 0xbb9c, v72
	ds_write_b16 v25, v60 offset:20
	ds_write_b16 v25, v63 offset:40
	;; [unrolled: 1-line block ×4, first 2 shown]
	v_add_f16_e32 v50, v91, v92
	ds_write_b16 v25, v58 offset:10
	ds_write_b16 v25, v59 offset:30
	;; [unrolled: 1-line block ×3, first 2 shown]
	v_sub_f16_e32 v58, v90, v96
	v_fmac_f16_e32 v61, 0xb8b4, v66
	v_sub_f16_e32 v59, v85, v91
	v_sub_f16_e32 v60, v93, v92
	v_fma_f16 v50, -0.5, v50, v48
	v_fmac_f16_e32 v72, 0x3b9c, v62
	v_fmac_f16_e32 v61, 0x34f2, v71
	ds_write_b16 v25, v94 offset:70
	ds_write_b16 v25, v64 offset:90
	;; [unrolled: 1-line block ×5, first 2 shown]
	ds_write_b16 v83, v95
	v_add_f16_e32 v61, v85, v93
	v_add_f16_e32 v62, v48, v85
	v_sub_f16_e32 v63, v78, v73
	v_add_f16_e32 v59, v59, v60
	v_fmamk_f16 v60, v58, 0xbb9c, v50
	v_fmac_f16_e32 v50, 0x3b9c, v58
	v_fmac_f16_e32 v48, -0.5, v61
	v_add_f16_e32 v61, v62, v91
	v_sub_f16_e32 v62, v91, v85
	v_fmac_f16_e32 v60, 0xb8b4, v63
	v_sub_f16_e32 v64, v92, v93
	v_fmac_f16_e32 v50, 0x38b4, v63
	v_fmac_f16_e32 v72, 0x38b4, v66
	v_fmamk_f16 v66, v63, 0x3b9c, v48
	v_fmac_f16_e32 v48, 0xbb9c, v63
	v_add_f16_e32 v61, v61, v92
	v_add_f16_e32 v62, v62, v64
	v_fmac_f16_e32 v60, 0x34f2, v59
	v_fmac_f16_e32 v50, 0x34f2, v59
	v_add_f16_e32 v59, v57, v53
	v_add_f16_e32 v64, v55, v54
	;; [unrolled: 1-line block ×3, first 2 shown]
	v_fmac_f16_e32 v66, 0xb8b4, v58
	v_fmac_f16_e32 v48, 0x38b4, v58
	v_add_f16_e32 v58, v61, v93
	v_sub_f16_e32 v61, v87, v68
	v_fma_f16 v59, -0.5, v59, v47
	v_sub_f16_e32 v68, v79, v74
	v_fmac_f16_e32 v47, -0.5, v64
	v_add_f16_e32 v64, v67, v57
	v_fmac_f16_e32 v66, 0x34f2, v62
	v_fmac_f16_e32 v48, 0x34f2, v62
	v_sub_f16_e32 v62, v55, v57
	v_sub_f16_e32 v63, v54, v53
	;; [unrolled: 1-line block ×4, first 2 shown]
	v_fmamk_f16 v67, v68, 0x3b9c, v47
	v_fmac_f16_e32 v47, 0xbb9c, v68
	v_add_f16_e32 v53, v64, v53
	v_add_f16_e32 v62, v62, v63
	;; [unrolled: 1-line block ×3, first 2 shown]
	v_fmac_f16_e32 v67, 0xb8b4, v61
	v_fmac_f16_e32 v47, 0x38b4, v61
	v_add_f16_e32 v53, v53, v54
	v_add_f16_e32 v54, v45, v43
	;; [unrolled: 1-line block ×3, first 2 shown]
	v_fmamk_f16 v63, v61, 0xbb9c, v59
	v_fmac_f16_e32 v59, 0x3b9c, v61
	v_fmac_f16_e32 v67, 0x34f2, v55
	;; [unrolled: 1-line block ×3, first 2 shown]
	v_sub_f16_e32 v52, v52, v56
	v_sub_f16_e32 v55, v49, v45
	;; [unrolled: 1-line block ×3, first 2 shown]
	v_fma_f16 v54, -0.5, v54, v65
	v_add_f16_e32 v61, v65, v49
	v_sub_f16_e32 v46, v46, v51
	v_fmac_f16_e32 v65, -0.5, v57
	v_add_f16_e32 v51, v55, v56
	v_fmamk_f16 v55, v52, 0xbb9c, v54
	v_add_f16_e32 v56, v61, v45
	v_sub_f16_e32 v45, v45, v49
	v_fmac_f16_e32 v54, 0x3b9c, v52
	v_sub_f16_e32 v49, v43, v44
	v_fmamk_f16 v57, v46, 0x3b9c, v65
	v_fmac_f16_e32 v65, 0xbb9c, v46
	v_fmac_f16_e32 v72, 0x34f2, v71
	;; [unrolled: 1-line block ×5, first 2 shown]
	v_add_f16_e32 v43, v56, v43
	v_fmac_f16_e32 v54, 0x38b4, v46
	v_add_f16_e32 v45, v45, v49
	v_fmac_f16_e32 v57, 0xb8b4, v52
	v_fmac_f16_e32 v65, 0x38b4, v52
	;; [unrolled: 1-line block ×4, first 2 shown]
	v_add_f16_e32 v43, v43, v44
	v_fmac_f16_e32 v55, 0x34f2, v51
	v_fmac_f16_e32 v54, 0x34f2, v51
	;; [unrolled: 1-line block ×4, first 2 shown]
	ds_write_b16 v25, v72 offset:180
	ds_write_b16 v25, v58 offset:110
	;; [unrolled: 1-line block ×16, first 2 shown]
	s_waitcnt lgkmcnt(0)
	s_barrier
	buffer_gl0_inv
	s_and_saveexec_b32 s0, vcc_lo
	s_cbranch_execz .LBB0_14
; %bb.13:
	v_add_nc_u32_e32 v61, 45, v16
	v_add_nc_u32_e32 v62, 30, v16
	v_lshlrev_b32_e32 v22, 1, v61
	v_lshlrev_b64 v[43:44], 2, v[22:23]
	v_lshlrev_b32_e32 v22, 1, v21
	v_lshlrev_b64 v[21:22], 2, v[22:23]
	v_add_co_u32 v43, vcc_lo, s8, v43
	v_add_co_ci_u32_e32 v44, vcc_lo, s9, v44, vcc_lo
	v_add_co_u32 v45, vcc_lo, s8, v21
	v_add_co_ci_u32_e32 v46, vcc_lo, s9, v22, vcc_lo
	v_add_nc_u32_e32 v22, 0x46, v20
	s_clause 0x1
	global_load_dwordx2 v[43:44], v[43:44], off offset:160
	global_load_dwordx2 v[45:46], v[45:46], off offset:160
	v_lshlrev_b64 v[21:22], 2, v[22:23]
	v_add_co_u32 v47, vcc_lo, s8, v21
	v_add_co_ci_u32_e32 v48, vcc_lo, s9, v22, vcc_lo
	v_lshlrev_b32_e32 v22, 1, v62
	global_load_dwordx2 v[47:48], v[47:48], off offset:160
	v_lshlrev_b64 v[21:22], 2, v[22:23]
	v_add_co_u32 v21, vcc_lo, s8, v21
	v_add_co_ci_u32_e32 v22, vcc_lo, s9, v22, vcc_lo
	global_load_dwordx2 v[49:50], v[21:22], off offset:160
	v_lshlrev_b32_e32 v22, 1, v29
	v_lshlrev_b64 v[21:22], 2, v[22:23]
	v_add_co_u32 v21, vcc_lo, s8, v21
	v_add_co_ci_u32_e32 v22, vcc_lo, s9, v22, vcc_lo
	global_load_dwordx2 v[51:52], v[21:22], off offset:160
	v_lshlrev_b32_e32 v22, 1, v33
	v_lshlrev_b64 v[21:22], 2, v[22:23]
	v_add_co_u32 v21, vcc_lo, s8, v21
	v_add_co_ci_u32_e32 v22, vcc_lo, s9, v22, vcc_lo
	global_load_dwordx2 v[53:54], v[21:22], off offset:160
	v_add_nc_u32_e32 v22, 30, v20
	v_lshlrev_b64 v[21:22], 2, v[22:23]
	v_add_co_u32 v21, vcc_lo, s8, v21
	v_add_co_ci_u32_e32 v22, vcc_lo, s9, v22, vcc_lo
	global_load_dwordx2 v[55:56], v[21:22], off offset:160
	v_add_nc_u32_e32 v22, 20, v20
	v_lshlrev_b64 v[21:22], 2, v[22:23]
	v_add_co_u32 v21, vcc_lo, s8, v21
	v_add_co_ci_u32_e32 v22, vcc_lo, s9, v22, vcc_lo
	global_load_dwordx2 v[57:58], v[21:22], off offset:160
	v_lshlrev_b32_e32 v22, 1, v28
	v_mov_b32_e32 v21, v23
	v_mul_hi_u32 v28, 0x51eb851f, v62
	v_lshlrev_b64 v[59:60], 2, v[22:23]
	v_lshlrev_b64 v[20:21], 2, v[20:21]
	v_mul_hi_u32 v22, 0x51eb851f, v29
	v_mul_hi_u32 v29, 0x51eb851f, v61
	v_lshrrev_b32_e32 v28, 4, v28
	v_add_co_u32 v59, vcc_lo, s8, v59
	v_add_co_ci_u32_e32 v60, vcc_lo, s9, v60, vcc_lo
	v_add_co_u32 v20, vcc_lo, s8, v20
	v_add_co_ci_u32_e32 v21, vcc_lo, s9, v21, vcc_lo
	s_clause 0x1
	global_load_dwordx2 v[59:60], v[59:60], off offset:160
	global_load_dwordx2 v[20:21], v[20:21], off offset:160
	ds_read_u16 v33, v25 offset:90
	ds_read_u16 v63, v25 offset:240
	;; [unrolled: 1-line block ×14, first 2 shown]
	ds_read_u16 v76, v17
	ds_read_u16 v77, v25 offset:290
	ds_read_u16 v78, v25 offset:280
	;; [unrolled: 1-line block ×5, first 2 shown]
	v_lshrrev_b32_e32 v22, 4, v22
	v_mov_b32_e32 v17, v23
	v_add_co_u32 v61, vcc_lo, s2, v18
	v_add_co_ci_u32_e32 v88, vcc_lo, s3, v19, vcc_lo
	v_mul_u32_u24_e32 v22, 0x64, v22
	v_lshlrev_b64 v[16:17], 2, v[16:17]
	v_lshrrev_b32_e32 v89, 4, v29
	ds_read_u16 v62, v25 offset:160
	ds_read_u16 v82, v25 offset:150
	;; [unrolled: 1-line block ×9, first 2 shown]
	ds_read_u16 v26, v26
	v_lshlrev_b64 v[18:19], 2, v[22:23]
	v_mul_u32_u24_e32 v22, 0x64, v28
	v_add_co_u32 v16, vcc_lo, v61, v16
	v_add_co_ci_u32_e32 v17, vcc_lo, v88, v17, vcc_lo
	v_lshlrev_b64 v[28:29], 2, v[22:23]
	v_mul_u32_u24_e32 v22, 0x64, v89
	v_add_co_u32 v18, vcc_lo, v16, v18
	v_add_co_ci_u32_e32 v19, vcc_lo, v17, v19, vcc_lo
	v_lshlrev_b64 v[22:23], 2, v[22:23]
	v_add_co_u32 v28, vcc_lo, v16, v28
	v_add_co_ci_u32_e32 v29, vcc_lo, v17, v29, vcc_lo
	v_add_co_u32 v22, vcc_lo, v16, v22
	v_add_co_ci_u32_e32 v23, vcc_lo, v17, v23, vcc_lo
	s_waitcnt vmcnt(9) lgkmcnt(23)
	v_mul_f16_sdwa v61, v68, v43 dst_sel:DWORD dst_unused:UNUSED_PAD src0_sel:DWORD src1_sel:WORD_1
	s_waitcnt lgkmcnt(14)
	v_mul_f16_sdwa v88, v77, v44 dst_sel:DWORD dst_unused:UNUSED_PAD src0_sel:DWORD src1_sel:WORD_1
	v_mul_f16_sdwa v89, v41, v43 dst_sel:DWORD dst_unused:UNUSED_PAD src0_sel:DWORD src1_sel:WORD_1
	;; [unrolled: 1-line block ×3, first 2 shown]
	v_fma_f16 v41, v41, v43, -v61
	v_fma_f16 v42, v42, v44, -v88
	v_fmac_f16_e32 v89, v43, v68
	v_fmac_f16_e32 v90, v44, v77
	s_waitcnt vmcnt(8)
	v_mul_f16_sdwa v43, v69, v45 dst_sel:DWORD dst_unused:UNUSED_PAD src0_sel:DWORD src1_sel:WORD_1
	s_waitcnt lgkmcnt(13)
	v_mul_f16_sdwa v44, v78, v46 dst_sel:DWORD dst_unused:UNUSED_PAD src0_sel:DWORD src1_sel:WORD_1
	v_mul_f16_sdwa v61, v39, v45 dst_sel:DWORD dst_unused:UNUSED_PAD src0_sel:DWORD src1_sel:WORD_1
	;; [unrolled: 1-line block ×3, first 2 shown]
	v_sub_f16_e32 v77, v41, v42
	v_add_f16_e32 v88, v89, v90
	v_fma_f16 v39, v39, v45, -v43
	v_add_f16_e32 v43, v89, v33
	v_fma_f16 v40, v40, v46, -v44
	v_add_f16_e32 v44, v41, v42
	v_add_f16_e32 v41, v38, v41
	v_fmac_f16_e32 v61, v45, v69
	v_fmac_f16_e32 v68, v46, v78
	s_waitcnt vmcnt(7)
	v_mul_f16_sdwa v45, v70, v47 dst_sel:DWORD dst_unused:UNUSED_PAD src0_sel:DWORD src1_sel:WORD_1
	s_waitcnt lgkmcnt(12)
	v_mul_f16_sdwa v46, v79, v48 dst_sel:DWORD dst_unused:UNUSED_PAD src0_sel:DWORD src1_sel:WORD_1
	v_mul_f16_sdwa v69, v35, v47 dst_sel:DWORD dst_unused:UNUSED_PAD src0_sel:DWORD src1_sel:WORD_1
	;; [unrolled: 1-line block ×3, first 2 shown]
	v_sub_f16_e32 v89, v89, v90
	v_fma_f16 v33, -0.5, v88, v33
	v_add_f16_e32 v43, v90, v43
	v_fma_f16 v38, -0.5, v44, v38
	v_add_f16_e32 v41, v41, v42
	v_sub_f16_e32 v42, v39, v40
	v_add_f16_e32 v44, v61, v68
	v_add_f16_e32 v88, v61, v76
	;; [unrolled: 1-line block ×4, first 2 shown]
	v_fma_f16 v35, v35, v47, -v45
	v_fma_f16 v37, v37, v48, -v46
	v_fmac_f16_e32 v69, v47, v70
	v_fmac_f16_e32 v78, v48, v79
	s_waitcnt vmcnt(6) lgkmcnt(9)
	v_mul_f16_sdwa v45, v62, v49 dst_sel:DWORD dst_unused:UNUSED_PAD src0_sel:DWORD src1_sel:WORD_1
	v_mul_f16_sdwa v46, v80, v50 dst_sel:DWORD dst_unused:UNUSED_PAD src0_sel:DWORD src1_sel:WORD_1
	v_mul_f16_sdwa v47, v32, v49 dst_sel:DWORD dst_unused:UNUSED_PAD src0_sel:DWORD src1_sel:WORD_1
	v_mul_f16_sdwa v48, v34, v50 dst_sel:DWORD dst_unused:UNUSED_PAD src0_sel:DWORD src1_sel:WORD_1
	v_sub_f16_e32 v61, v61, v68
	v_fma_f16 v44, -0.5, v44, v76
	v_add_f16_e32 v68, v68, v88
	v_fma_f16 v36, -0.5, v90, v36
	v_add_f16_e32 v39, v39, v40
	v_sub_f16_e32 v40, v35, v37
	v_add_f16_e32 v76, v69, v78
	v_add_f16_e32 v79, v69, v75
	;; [unrolled: 1-line block ×4, first 2 shown]
	v_fma_f16 v32, v32, v49, -v45
	v_fma_f16 v34, v34, v50, -v46
	v_fmac_f16_e32 v47, v49, v62
	v_fmac_f16_e32 v48, v50, v80
	s_waitcnt vmcnt(5) lgkmcnt(8)
	v_mul_f16_sdwa v45, v82, v51 dst_sel:DWORD dst_unused:UNUSED_PAD src0_sel:DWORD src1_sel:WORD_1
	v_mul_f16_sdwa v46, v81, v52 dst_sel:DWORD dst_unused:UNUSED_PAD src0_sel:DWORD src1_sel:WORD_1
	;; [unrolled: 1-line block ×4, first 2 shown]
	v_fmamk_f16 v70, v77, 0x3aee, v33
	v_fmac_f16_e32 v33, 0xbaee, v77
	v_fmamk_f16 v77, v89, 0xbaee, v38
	v_fmac_f16_e32 v38, 0x3aee, v89
	v_sub_f16_e32 v69, v69, v78
	v_pack_b32_f16 v41, v41, v43
	v_fmamk_f16 v43, v42, 0x3aee, v44
	v_fmac_f16_e32 v44, 0xbaee, v42
	v_fmamk_f16 v42, v61, 0xbaee, v36
	v_fmac_f16_e32 v36, 0x3aee, v61
	v_fma_f16 v61, -0.5, v76, v75
	v_add_f16_e32 v62, v78, v79
	v_fma_f16 v27, -0.5, v88, v27
	v_add_f16_e32 v35, v35, v37
	v_sub_f16_e32 v37, v32, v34
	v_add_f16_e32 v75, v47, v48
	v_add_f16_e32 v78, v32, v34
	;; [unrolled: 1-line block ×3, first 2 shown]
	v_fma_f16 v30, v30, v51, -v45
	v_fma_f16 v31, v31, v52, -v46
	v_fmac_f16_e32 v49, v51, v82
	v_fmac_f16_e32 v50, v52, v81
	s_waitcnt vmcnt(4) lgkmcnt(7)
	v_mul_f16_sdwa v45, v83, v53 dst_sel:DWORD dst_unused:UNUSED_PAD src0_sel:DWORD src1_sel:WORD_1
	v_mul_f16_sdwa v46, v63, v54 dst_sel:DWORD dst_unused:UNUSED_PAD src0_sel:DWORD src1_sel:WORD_1
	;; [unrolled: 1-line block ×4, first 2 shown]
	v_add_f16_e32 v76, v47, v74
	v_sub_f16_e32 v47, v47, v48
	v_pack_b32_f16 v39, v39, v68
	v_pack_b32_f16 v33, v38, v33
	;; [unrolled: 1-line block ×3, first 2 shown]
	v_fmamk_f16 v68, v40, 0x3aee, v61
	v_fmac_f16_e32 v61, 0xbaee, v40
	v_fmamk_f16 v40, v69, 0xbaee, v27
	v_fmac_f16_e32 v27, 0x3aee, v69
	v_fma_f16 v69, -0.5, v75, v74
	v_fma_f16 v15, -0.5, v78, v15
	v_add_f16_e32 v32, v32, v34
	v_sub_f16_e32 v34, v30, v31
	v_add_f16_e32 v70, v49, v50
	v_add_f16_e32 v74, v49, v73
	;; [unrolled: 1-line block ×4, first 2 shown]
	v_fma_f16 v24, v24, v53, -v45
	v_fma_f16 v14, v14, v54, -v46
	v_fmac_f16_e32 v51, v53, v83
	v_fmac_f16_e32 v52, v54, v63
	s_waitcnt vmcnt(3) lgkmcnt(6)
	v_mul_f16_sdwa v45, v84, v55 dst_sel:DWORD dst_unused:UNUSED_PAD src0_sel:DWORD src1_sel:WORD_1
	v_mul_f16_sdwa v46, v64, v56 dst_sel:DWORD dst_unused:UNUSED_PAD src0_sel:DWORD src1_sel:WORD_1
	;; [unrolled: 1-line block ×4, first 2 shown]
	v_add_f16_e32 v48, v48, v76
	v_sub_f16_e32 v49, v49, v50
	v_pack_b32_f16 v35, v35, v62
	v_pack_b32_f16 v36, v36, v44
	;; [unrolled: 1-line block ×3, first 2 shown]
	v_fmamk_f16 v43, v37, 0x3aee, v69
	v_fmac_f16_e32 v69, 0xbaee, v37
	v_fmamk_f16 v37, v47, 0xbaee, v15
	v_fmac_f16_e32 v15, 0x3aee, v47
	v_fma_f16 v44, -0.5, v70, v73
	v_add_f16_e32 v47, v50, v74
	v_fma_f16 v12, -0.5, v75, v12
	v_add_f16_e32 v30, v30, v31
	v_sub_f16_e32 v31, v24, v14
	v_add_f16_e32 v50, v51, v52
	v_add_f16_e32 v62, v51, v72
	;; [unrolled: 1-line block ×4, first 2 shown]
	v_fma_f16 v13, v13, v55, -v45
	v_fma_f16 v11, v11, v56, -v46
	v_fmac_f16_e32 v53, v55, v84
	v_fmac_f16_e32 v54, v56, v64
	s_waitcnt vmcnt(2) lgkmcnt(5)
	v_mul_f16_sdwa v45, v85, v57 dst_sel:DWORD dst_unused:UNUSED_PAD src0_sel:DWORD src1_sel:WORD_1
	v_mul_f16_sdwa v46, v65, v58 dst_sel:DWORD dst_unused:UNUSED_PAD src0_sel:DWORD src1_sel:WORD_1
	;; [unrolled: 1-line block ×4, first 2 shown]
	v_sub_f16_e32 v51, v51, v52
	v_pack_b32_f16 v32, v32, v48
	v_pack_b32_f16 v27, v27, v61
	;; [unrolled: 1-line block ×3, first 2 shown]
	v_fmamk_f16 v48, v34, 0x3aee, v44
	v_fmac_f16_e32 v44, 0xbaee, v34
	v_fmamk_f16 v34, v49, 0xbaee, v12
	v_fmac_f16_e32 v12, 0x3aee, v49
	v_fma_f16 v49, -0.5, v50, v72
	v_add_f16_e32 v50, v52, v62
	v_fma_f16 v9, -0.5, v63, v9
	v_add_f16_e32 v14, v24, v14
	v_sub_f16_e32 v24, v13, v11
	v_add_f16_e32 v52, v53, v54
	v_add_f16_e32 v61, v53, v71
	;; [unrolled: 1-line block ×4, first 2 shown]
	v_fma_f16 v10, v10, v57, -v45
	v_fma_f16 v8, v8, v58, -v46
	v_fmac_f16_e32 v55, v57, v85
	v_fmac_f16_e32 v56, v58, v65
	s_waitcnt vmcnt(1) lgkmcnt(4)
	v_mul_f16_sdwa v45, v86, v59 dst_sel:DWORD dst_unused:UNUSED_PAD src0_sel:DWORD src1_sel:WORD_1
	v_mul_f16_sdwa v46, v66, v60 dst_sel:DWORD dst_unused:UNUSED_PAD src0_sel:DWORD src1_sel:WORD_1
	s_waitcnt vmcnt(0) lgkmcnt(3)
	v_mul_f16_sdwa v63, v87, v20 dst_sel:DWORD dst_unused:UNUSED_PAD src0_sel:DWORD src1_sel:WORD_1
	v_mul_f16_sdwa v64, v67, v21 dst_sel:DWORD dst_unused:UNUSED_PAD src0_sel:DWORD src1_sel:WORD_1
	;; [unrolled: 1-line block ×6, first 2 shown]
	v_sub_f16_e32 v53, v53, v54
	v_pack_b32_f16 v30, v30, v47
	v_pack_b32_f16 v37, v37, v43
	v_fmamk_f16 v43, v31, 0x3aee, v49
	v_fmac_f16_e32 v49, 0xbaee, v31
	v_fmamk_f16 v31, v51, 0xbaee, v9
	v_fmac_f16_e32 v9, 0x3aee, v51
	v_fma_f16 v47, -0.5, v52, v71
	v_add_f16_e32 v51, v54, v61
	v_fma_f16 v3, -0.5, v62, v3
	v_add_f16_e32 v11, v13, v11
	v_sub_f16_e32 v13, v10, v8
	s_waitcnt lgkmcnt(2)
	v_add_f16_e32 v54, v55, v91
	v_add_f16_e32 v61, v10, v8
	;; [unrolled: 1-line block ×3, first 2 shown]
	v_fma_f16 v6, v6, v59, -v45
	v_fma_f16 v7, v7, v60, -v46
	;; [unrolled: 1-line block ×4, first 2 shown]
	v_fmac_f16_e32 v65, v20, v87
	v_fmac_f16_e32 v68, v21, v67
	;; [unrolled: 1-line block ×4, first 2 shown]
	v_add_f16_e32 v52, v55, v56
	v_sub_f16_e32 v55, v55, v56
	v_pack_b32_f16 v12, v12, v44
	v_pack_b32_f16 v20, v34, v48
	v_fmamk_f16 v21, v24, 0x3aee, v47
	v_fmac_f16_e32 v47, 0xbaee, v24
	v_fmamk_f16 v24, v53, 0xbaee, v3
	v_fmac_f16_e32 v3, 0x3aee, v53
	v_add_f16_e32 v44, v56, v54
	v_add_f16_e32 v8, v10, v8
	v_sub_f16_e32 v10, v6, v7
	v_add_f16_e32 v48, v6, v7
	v_add_f16_e32 v6, v1, v6
	;; [unrolled: 1-line block ×4, first 2 shown]
	v_pack_b32_f16 v14, v14, v50
	v_add_f16_e32 v45, v57, v58
	v_fma_f16 v34, -0.5, v52, v91
	v_fma_f16 v2, -0.5, v61, v2
	s_waitcnt lgkmcnt(1)
	v_add_f16_e32 v46, v57, v25
	v_sub_f16_e32 v52, v4, v5
	s_waitcnt lgkmcnt(0)
	v_add_f16_e32 v54, v65, v26
	v_add_f16_e32 v4, v0, v4
	v_sub_f16_e32 v50, v57, v58
	v_sub_f16_e32 v57, v65, v68
	v_pack_b32_f16 v11, v11, v51
	v_pack_b32_f16 v9, v9, v49
	v_add_f16_e32 v6, v6, v7
	v_fma_f16 v7, -0.5, v53, v26
	v_fma_f16 v0, -0.5, v56, v0
	global_store_dword v[16:17], v14, off offset:80
	v_pack_b32_f16 v14, v31, v43
	v_fma_f16 v25, -0.5, v45, v25
	v_fma_f16 v1, -0.5, v48, v1
	global_store_dword v[18:19], v20, off offset:500
	v_fmamk_f16 v20, v13, 0x3aee, v34
	v_fmac_f16_e32 v34, 0xbaee, v13
	v_fmamk_f16 v13, v55, 0xbaee, v2
	v_fmac_f16_e32 v2, 0x3aee, v55
	v_add_f16_e32 v31, v58, v46
	v_add_f16_e32 v26, v68, v54
	;; [unrolled: 1-line block ×3, first 2 shown]
	v_pack_b32_f16 v5, v8, v44
	global_store_dword v[16:17], v11, off offset:60
	global_store_dword v[16:17], v9, off offset:280
	;; [unrolled: 1-line block ×3, first 2 shown]
	v_fmamk_f16 v11, v52, 0x3aee, v7
	v_fmac_f16_e32 v7, 0xbaee, v52
	v_fmamk_f16 v14, v57, 0xbaee, v0
	v_fmac_f16_e32 v0, 0x3aee, v57
	v_pack_b32_f16 v3, v3, v47
	v_pack_b32_f16 v8, v24, v21
	v_fmamk_f16 v9, v10, 0x3aee, v25
	v_fmac_f16_e32 v25, 0xbaee, v10
	v_fmamk_f16 v10, v50, 0xbaee, v1
	v_fmac_f16_e32 v1, 0x3aee, v50
	v_pack_b32_f16 v4, v4, v26
	v_pack_b32_f16 v6, v6, v31
	;; [unrolled: 1-line block ×3, first 2 shown]
	global_store_dword v[16:17], v5, off offset:40
	v_pack_b32_f16 v5, v13, v20
	v_pack_b32_f16 v0, v0, v7
	global_store_dword v[16:17], v3, off offset:260
	global_store_dword v[16:17], v8, off offset:460
	global_store_dword v[16:17], v4, off
	v_pack_b32_f16 v3, v14, v11
	v_pack_b32_f16 v1, v1, v25
	;; [unrolled: 1-line block ×3, first 2 shown]
	global_store_dword v[16:17], v6, off offset:20
	v_pack_b32_f16 v4, v10, v9
	global_store_dword v[16:17], v2, off offset:240
	global_store_dword v[16:17], v5, off offset:440
	;; [unrolled: 1-line block ×20, first 2 shown]
.LBB0_14:
	s_endpgm
	.section	.rodata,"a",@progbits
	.p2align	6, 0x0
	.amdhsa_kernel fft_rtc_fwd_len150_factors_10_5_3_wgs_60_tpt_5_halfLds_half_ip_CI_unitstride_sbrr_dirReg
		.amdhsa_group_segment_fixed_size 0
		.amdhsa_private_segment_fixed_size 0
		.amdhsa_kernarg_size 88
		.amdhsa_user_sgpr_count 6
		.amdhsa_user_sgpr_private_segment_buffer 1
		.amdhsa_user_sgpr_dispatch_ptr 0
		.amdhsa_user_sgpr_queue_ptr 0
		.amdhsa_user_sgpr_kernarg_segment_ptr 1
		.amdhsa_user_sgpr_dispatch_id 0
		.amdhsa_user_sgpr_flat_scratch_init 0
		.amdhsa_user_sgpr_private_segment_size 0
		.amdhsa_wavefront_size32 1
		.amdhsa_uses_dynamic_stack 0
		.amdhsa_system_sgpr_private_segment_wavefront_offset 0
		.amdhsa_system_sgpr_workgroup_id_x 1
		.amdhsa_system_sgpr_workgroup_id_y 0
		.amdhsa_system_sgpr_workgroup_id_z 0
		.amdhsa_system_sgpr_workgroup_info 0
		.amdhsa_system_vgpr_workitem_id 0
		.amdhsa_next_free_vgpr 97
		.amdhsa_next_free_sgpr 21
		.amdhsa_reserve_vcc 1
		.amdhsa_reserve_flat_scratch 0
		.amdhsa_float_round_mode_32 0
		.amdhsa_float_round_mode_16_64 0
		.amdhsa_float_denorm_mode_32 3
		.amdhsa_float_denorm_mode_16_64 3
		.amdhsa_dx10_clamp 1
		.amdhsa_ieee_mode 1
		.amdhsa_fp16_overflow 0
		.amdhsa_workgroup_processor_mode 1
		.amdhsa_memory_ordered 1
		.amdhsa_forward_progress 0
		.amdhsa_shared_vgpr_count 0
		.amdhsa_exception_fp_ieee_invalid_op 0
		.amdhsa_exception_fp_denorm_src 0
		.amdhsa_exception_fp_ieee_div_zero 0
		.amdhsa_exception_fp_ieee_overflow 0
		.amdhsa_exception_fp_ieee_underflow 0
		.amdhsa_exception_fp_ieee_inexact 0
		.amdhsa_exception_int_div_zero 0
	.end_amdhsa_kernel
	.text
.Lfunc_end0:
	.size	fft_rtc_fwd_len150_factors_10_5_3_wgs_60_tpt_5_halfLds_half_ip_CI_unitstride_sbrr_dirReg, .Lfunc_end0-fft_rtc_fwd_len150_factors_10_5_3_wgs_60_tpt_5_halfLds_half_ip_CI_unitstride_sbrr_dirReg
                                        ; -- End function
	.section	.AMDGPU.csdata,"",@progbits
; Kernel info:
; codeLenInByte = 11820
; NumSgprs: 23
; NumVgprs: 97
; ScratchSize: 0
; MemoryBound: 0
; FloatMode: 240
; IeeeMode: 1
; LDSByteSize: 0 bytes/workgroup (compile time only)
; SGPRBlocks: 2
; VGPRBlocks: 12
; NumSGPRsForWavesPerEU: 23
; NumVGPRsForWavesPerEU: 97
; Occupancy: 9
; WaveLimiterHint : 1
; COMPUTE_PGM_RSRC2:SCRATCH_EN: 0
; COMPUTE_PGM_RSRC2:USER_SGPR: 6
; COMPUTE_PGM_RSRC2:TRAP_HANDLER: 0
; COMPUTE_PGM_RSRC2:TGID_X_EN: 1
; COMPUTE_PGM_RSRC2:TGID_Y_EN: 0
; COMPUTE_PGM_RSRC2:TGID_Z_EN: 0
; COMPUTE_PGM_RSRC2:TIDIG_COMP_CNT: 0
	.text
	.p2alignl 6, 3214868480
	.fill 48, 4, 3214868480
	.type	__hip_cuid_636f904b00cb7aba,@object ; @__hip_cuid_636f904b00cb7aba
	.section	.bss,"aw",@nobits
	.globl	__hip_cuid_636f904b00cb7aba
__hip_cuid_636f904b00cb7aba:
	.byte	0                               ; 0x0
	.size	__hip_cuid_636f904b00cb7aba, 1

	.ident	"AMD clang version 19.0.0git (https://github.com/RadeonOpenCompute/llvm-project roc-6.4.0 25133 c7fe45cf4b819c5991fe208aaa96edf142730f1d)"
	.section	".note.GNU-stack","",@progbits
	.addrsig
	.addrsig_sym __hip_cuid_636f904b00cb7aba
	.amdgpu_metadata
---
amdhsa.kernels:
  - .args:
      - .actual_access:  read_only
        .address_space:  global
        .offset:         0
        .size:           8
        .value_kind:     global_buffer
      - .offset:         8
        .size:           8
        .value_kind:     by_value
      - .actual_access:  read_only
        .address_space:  global
        .offset:         16
        .size:           8
        .value_kind:     global_buffer
      - .actual_access:  read_only
        .address_space:  global
        .offset:         24
        .size:           8
        .value_kind:     global_buffer
      - .offset:         32
        .size:           8
        .value_kind:     by_value
      - .actual_access:  read_only
        .address_space:  global
        .offset:         40
        .size:           8
        .value_kind:     global_buffer
      - .actual_access:  read_only
        .address_space:  global
        .offset:         48
        .size:           8
        .value_kind:     global_buffer
      - .offset:         56
        .size:           4
        .value_kind:     by_value
      - .actual_access:  read_only
        .address_space:  global
        .offset:         64
        .size:           8
        .value_kind:     global_buffer
      - .actual_access:  read_only
        .address_space:  global
        .offset:         72
        .size:           8
        .value_kind:     global_buffer
      - .address_space:  global
        .offset:         80
        .size:           8
        .value_kind:     global_buffer
    .group_segment_fixed_size: 0
    .kernarg_segment_align: 8
    .kernarg_segment_size: 88
    .language:       OpenCL C
    .language_version:
      - 2
      - 0
    .max_flat_workgroup_size: 60
    .name:           fft_rtc_fwd_len150_factors_10_5_3_wgs_60_tpt_5_halfLds_half_ip_CI_unitstride_sbrr_dirReg
    .private_segment_fixed_size: 0
    .sgpr_count:     23
    .sgpr_spill_count: 0
    .symbol:         fft_rtc_fwd_len150_factors_10_5_3_wgs_60_tpt_5_halfLds_half_ip_CI_unitstride_sbrr_dirReg.kd
    .uniform_work_group_size: 1
    .uses_dynamic_stack: false
    .vgpr_count:     97
    .vgpr_spill_count: 0
    .wavefront_size: 32
    .workgroup_processor_mode: 1
amdhsa.target:   amdgcn-amd-amdhsa--gfx1030
amdhsa.version:
  - 1
  - 2
...

	.end_amdgpu_metadata
